;; amdgpu-corpus repo=ROCm/rocFFT kind=compiled arch=gfx950 opt=O3
	.text
	.amdgcn_target "amdgcn-amd-amdhsa--gfx950"
	.amdhsa_code_object_version 6
	.protected	fft_rtc_back_len663_factors_17_13_3_wgs_51_tpt_51_sp_op_CI_CI_sbrr_dirReg ; -- Begin function fft_rtc_back_len663_factors_17_13_3_wgs_51_tpt_51_sp_op_CI_CI_sbrr_dirReg
	.globl	fft_rtc_back_len663_factors_17_13_3_wgs_51_tpt_51_sp_op_CI_CI_sbrr_dirReg
	.p2align	8
	.type	fft_rtc_back_len663_factors_17_13_3_wgs_51_tpt_51_sp_op_CI_CI_sbrr_dirReg,@function
fft_rtc_back_len663_factors_17_13_3_wgs_51_tpt_51_sp_op_CI_CI_sbrr_dirReg: ; @fft_rtc_back_len663_factors_17_13_3_wgs_51_tpt_51_sp_op_CI_CI_sbrr_dirReg
; %bb.0:
	s_load_dwordx4 s[12:15], s[0:1], 0x18
	s_load_dwordx4 s[4:7], s[0:1], 0x0
	;; [unrolled: 1-line block ×3, first 2 shown]
	v_mul_u32_u24_e32 v1, 0x506, v0
	v_add_u32_sdwa v6, s2, v1 dst_sel:DWORD dst_unused:UNUSED_PAD src0_sel:DWORD src1_sel:WORD_1
	s_waitcnt lgkmcnt(0)
	s_load_dwordx2 s[18:19], s[12:13], 0x0
	s_load_dwordx2 s[16:17], s[14:15], 0x0
	v_mov_b32_e32 v4, 0
	v_cmp_lt_u64_e64 s[2:3], s[6:7], 2
	v_mov_b32_e32 v7, v4
	s_and_b64 vcc, exec, s[2:3]
	v_mov_b64_e32 v[2:3], 0
	s_cbranch_vccnz .LBB0_8
; %bb.1:
	s_load_dwordx2 s[2:3], s[0:1], 0x10
	s_add_u32 s20, s14, 8
	s_addc_u32 s21, s15, 0
	s_add_u32 s22, s12, 8
	s_addc_u32 s23, s13, 0
	s_waitcnt lgkmcnt(0)
	s_add_u32 s24, s2, 8
	v_mov_b64_e32 v[2:3], 0
	s_addc_u32 s25, s3, 0
	s_mov_b64 s[26:27], 1
	v_mov_b64_e32 v[28:29], v[2:3]
.LBB0_2:                                ; =>This Inner Loop Header: Depth=1
	s_load_dwordx2 s[28:29], s[24:25], 0x0
                                        ; implicit-def: $vgpr30_vgpr31
	s_waitcnt lgkmcnt(0)
	v_or_b32_e32 v5, s29, v7
	v_cmp_ne_u64_e32 vcc, 0, v[4:5]
	s_and_saveexec_b64 s[2:3], vcc
	s_xor_b64 s[30:31], exec, s[2:3]
	s_cbranch_execz .LBB0_4
; %bb.3:                                ;   in Loop: Header=BB0_2 Depth=1
	v_cvt_f32_u32_e32 v1, s28
	v_cvt_f32_u32_e32 v5, s29
	s_sub_u32 s2, 0, s28
	s_subb_u32 s3, 0, s29
	v_fmac_f32_e32 v1, 0x4f800000, v5
	v_rcp_f32_e32 v1, v1
	s_nop 0
	v_mul_f32_e32 v1, 0x5f7ffffc, v1
	v_mul_f32_e32 v5, 0x2f800000, v1
	v_trunc_f32_e32 v5, v5
	v_fmac_f32_e32 v1, 0xcf800000, v5
	v_cvt_u32_f32_e32 v5, v5
	v_cvt_u32_f32_e32 v1, v1
	v_mul_lo_u32 v8, s2, v5
	v_mul_hi_u32 v10, s2, v1
	v_mul_lo_u32 v9, s3, v1
	v_add_u32_e32 v10, v10, v8
	v_mul_lo_u32 v12, s2, v1
	v_add_u32_e32 v13, v10, v9
	v_mul_hi_u32 v8, v1, v12
	v_mul_hi_u32 v11, v1, v13
	v_mul_lo_u32 v10, v1, v13
	v_mov_b32_e32 v9, v4
	v_lshl_add_u64 v[8:9], v[8:9], 0, v[10:11]
	v_mul_hi_u32 v11, v5, v12
	v_mul_lo_u32 v12, v5, v12
	v_add_co_u32_e32 v8, vcc, v8, v12
	v_mul_hi_u32 v10, v5, v13
	s_nop 0
	v_addc_co_u32_e32 v8, vcc, v9, v11, vcc
	v_mov_b32_e32 v9, v4
	s_nop 0
	v_addc_co_u32_e32 v11, vcc, 0, v10, vcc
	v_mul_lo_u32 v10, v5, v13
	v_lshl_add_u64 v[8:9], v[8:9], 0, v[10:11]
	v_add_co_u32_e32 v1, vcc, v1, v8
	v_mul_lo_u32 v10, s2, v1
	s_nop 0
	v_addc_co_u32_e32 v5, vcc, v5, v9, vcc
	v_mul_lo_u32 v8, s2, v5
	v_mul_hi_u32 v9, s2, v1
	v_add_u32_e32 v8, v9, v8
	v_mul_lo_u32 v9, s3, v1
	v_add_u32_e32 v12, v8, v9
	v_mul_hi_u32 v14, v5, v10
	v_mul_lo_u32 v15, v5, v10
	v_mul_hi_u32 v9, v1, v12
	v_mul_lo_u32 v8, v1, v12
	v_mul_hi_u32 v10, v1, v10
	v_mov_b32_e32 v11, v4
	v_lshl_add_u64 v[8:9], v[10:11], 0, v[8:9]
	v_add_co_u32_e32 v8, vcc, v8, v15
	v_mul_hi_u32 v13, v5, v12
	s_nop 0
	v_addc_co_u32_e32 v8, vcc, v9, v14, vcc
	v_mul_lo_u32 v10, v5, v12
	s_nop 0
	v_addc_co_u32_e32 v11, vcc, 0, v13, vcc
	v_mov_b32_e32 v9, v4
	v_lshl_add_u64 v[8:9], v[8:9], 0, v[10:11]
	v_add_co_u32_e32 v1, vcc, v1, v8
	v_mul_hi_u32 v10, v6, v1
	s_nop 0
	v_addc_co_u32_e32 v5, vcc, v5, v9, vcc
	v_mad_u64_u32 v[8:9], s[2:3], v6, v5, 0
	v_mov_b32_e32 v11, v4
	v_lshl_add_u64 v[8:9], v[10:11], 0, v[8:9]
	v_mad_u64_u32 v[12:13], s[2:3], v7, v1, 0
	v_add_co_u32_e32 v1, vcc, v8, v12
	v_mad_u64_u32 v[10:11], s[2:3], v7, v5, 0
	s_nop 0
	v_addc_co_u32_e32 v8, vcc, v9, v13, vcc
	v_mov_b32_e32 v9, v4
	s_nop 0
	v_addc_co_u32_e32 v11, vcc, 0, v11, vcc
	v_lshl_add_u64 v[8:9], v[8:9], 0, v[10:11]
	v_mul_lo_u32 v1, s29, v8
	v_mul_lo_u32 v5, s28, v9
	v_mad_u64_u32 v[10:11], s[2:3], s28, v8, 0
	v_add3_u32 v1, v11, v5, v1
	v_sub_u32_e32 v5, v7, v1
	v_mov_b32_e32 v11, s29
	v_sub_co_u32_e32 v14, vcc, v6, v10
	v_lshl_add_u64 v[12:13], v[8:9], 0, 1
	s_nop 0
	v_subb_co_u32_e64 v5, s[2:3], v5, v11, vcc
	v_subrev_co_u32_e64 v10, s[2:3], s28, v14
	v_subb_co_u32_e32 v1, vcc, v7, v1, vcc
	s_nop 0
	v_subbrev_co_u32_e64 v5, s[2:3], 0, v5, s[2:3]
	v_cmp_le_u32_e64 s[2:3], s29, v5
	v_cmp_le_u32_e32 vcc, s29, v1
	s_nop 0
	v_cndmask_b32_e64 v11, 0, -1, s[2:3]
	v_cmp_le_u32_e64 s[2:3], s28, v10
	s_nop 1
	v_cndmask_b32_e64 v10, 0, -1, s[2:3]
	v_cmp_eq_u32_e64 s[2:3], s29, v5
	s_nop 1
	v_cndmask_b32_e64 v5, v11, v10, s[2:3]
	v_lshl_add_u64 v[10:11], v[8:9], 0, 2
	v_cmp_ne_u32_e64 s[2:3], 0, v5
	s_nop 1
	v_cndmask_b32_e64 v5, v13, v11, s[2:3]
	v_cndmask_b32_e64 v11, 0, -1, vcc
	v_cmp_le_u32_e32 vcc, s28, v14
	s_nop 1
	v_cndmask_b32_e64 v13, 0, -1, vcc
	v_cmp_eq_u32_e32 vcc, s29, v1
	s_nop 1
	v_cndmask_b32_e32 v1, v11, v13, vcc
	v_cmp_ne_u32_e32 vcc, 0, v1
	v_cndmask_b32_e64 v1, v12, v10, s[2:3]
	s_nop 0
	v_cndmask_b32_e32 v31, v9, v5, vcc
	v_cndmask_b32_e32 v30, v8, v1, vcc
.LBB0_4:                                ;   in Loop: Header=BB0_2 Depth=1
	s_andn2_saveexec_b64 s[2:3], s[30:31]
	s_cbranch_execz .LBB0_6
; %bb.5:                                ;   in Loop: Header=BB0_2 Depth=1
	v_cvt_f32_u32_e32 v1, s28
	s_sub_i32 s30, 0, s28
	v_mov_b32_e32 v31, v4
	v_rcp_iflag_f32_e32 v1, v1
	s_nop 0
	v_mul_f32_e32 v1, 0x4f7ffffe, v1
	v_cvt_u32_f32_e32 v1, v1
	v_mul_lo_u32 v5, s30, v1
	v_mul_hi_u32 v5, v1, v5
	v_add_u32_e32 v1, v1, v5
	v_mul_hi_u32 v1, v6, v1
	v_mul_lo_u32 v5, v1, s28
	v_sub_u32_e32 v5, v6, v5
	v_add_u32_e32 v8, 1, v1
	v_subrev_u32_e32 v9, s28, v5
	v_cmp_le_u32_e32 vcc, s28, v5
	s_nop 1
	v_cndmask_b32_e32 v5, v5, v9, vcc
	v_cndmask_b32_e32 v1, v1, v8, vcc
	v_add_u32_e32 v8, 1, v1
	v_cmp_le_u32_e32 vcc, s28, v5
	s_nop 1
	v_cndmask_b32_e32 v30, v1, v8, vcc
.LBB0_6:                                ;   in Loop: Header=BB0_2 Depth=1
	s_or_b64 exec, exec, s[2:3]
	v_mad_u64_u32 v[8:9], s[2:3], v30, s28, 0
	s_load_dwordx2 s[2:3], s[22:23], 0x0
	v_mul_lo_u32 v1, v31, s28
	v_mul_lo_u32 v5, v30, s29
	s_load_dwordx2 s[28:29], s[20:21], 0x0
	s_add_u32 s26, s26, 1
	v_add3_u32 v1, v9, v5, v1
	v_sub_co_u32_e32 v5, vcc, v6, v8
	s_addc_u32 s27, s27, 0
	s_nop 0
	v_subb_co_u32_e32 v1, vcc, v7, v1, vcc
	s_add_u32 s20, s20, 8
	s_waitcnt lgkmcnt(0)
	v_mul_lo_u32 v6, s2, v1
	v_mul_lo_u32 v7, s3, v5
	v_mad_u64_u32 v[2:3], s[2:3], s2, v5, v[2:3]
	s_addc_u32 s21, s21, 0
	v_add3_u32 v3, v7, v3, v6
	v_mul_lo_u32 v1, s28, v1
	v_mul_lo_u32 v6, s29, v5
	v_mad_u64_u32 v[28:29], s[2:3], s28, v5, v[28:29]
	s_add_u32 s22, s22, 8
	v_add3_u32 v29, v6, v29, v1
	s_addc_u32 s23, s23, 0
	v_mov_b64_e32 v[6:7], s[6:7]
	s_add_u32 s24, s24, 8
	v_cmp_ge_u64_e32 vcc, s[26:27], v[6:7]
	s_addc_u32 s25, s25, 0
	s_cbranch_vccnz .LBB0_9
; %bb.7:                                ;   in Loop: Header=BB0_2 Depth=1
	v_mov_b64_e32 v[6:7], v[30:31]
	s_branch .LBB0_2
.LBB0_8:
	v_mov_b64_e32 v[28:29], v[2:3]
	v_mov_b64_e32 v[30:31], v[6:7]
.LBB0_9:
	s_load_dwordx2 s[0:1], s[0:1], 0x28
	s_lshl_b64 s[20:21], s[6:7], 3
	s_mov_b32 s6, 0x5050506
	v_mul_hi_u32 v1, v0, s6
	v_mul_u32_u24_e32 v1, 51, v1
	v_sub_u32_e32 v170, v0, v1
	s_add_u32 s2, s14, s20
	s_waitcnt lgkmcnt(0)
	v_cmp_gt_u64_e32 vcc, s[0:1], v[30:31]
	v_cmp_gt_u32_e64 s[0:1], 39, v170
	v_mov_b32_e32 v0, 0
	s_addc_u32 s3, s15, s21
	s_and_b64 s[14:15], vcc, s[0:1]
	v_mov_b32_e32 v1, v0
                                        ; implicit-def: $vgpr4
                                        ; implicit-def: $vgpr36
                                        ; implicit-def: $vgpr6
                                        ; implicit-def: $vgpr44
                                        ; implicit-def: $vgpr8
                                        ; implicit-def: $vgpr46
                                        ; implicit-def: $vgpr10
                                        ; implicit-def: $vgpr50
                                        ; implicit-def: $vgpr14
                                        ; implicit-def: $vgpr16
                                        ; implicit-def: $vgpr22
                                        ; implicit-def: $vgpr24
                                        ; implicit-def: $vgpr38
                                        ; implicit-def: $vgpr42
                                        ; implicit-def: $vgpr52
                                        ; implicit-def: $vgpr48
	s_and_saveexec_b64 s[6:7], s[14:15]
	s_cbranch_execz .LBB0_11
; %bb.10:
	s_add_u32 s12, s12, s20
	s_addc_u32 s13, s13, s21
	s_load_dwordx2 s[12:13], s[12:13], 0x0
	s_waitcnt lgkmcnt(0)
	v_mul_lo_u32 v4, s13, v30
	v_mul_lo_u32 v5, s12, v31
	v_mad_u64_u32 v[0:1], s[12:13], s12, v30, 0
	v_add3_u32 v1, v1, v5, v4
	v_mad_u64_u32 v[4:5], s[12:13], s18, v170, 0
	v_mov_b32_e32 v6, v5
	v_mad_u64_u32 v[6:7], s[12:13], s19, v170, v[6:7]
	v_lshl_add_u64 v[0:1], v[0:1], 3, s[8:9]
	v_mov_b32_e32 v5, v6
	v_lshl_add_u64 v[2:3], v[2:3], 3, v[0:1]
	v_lshl_add_u64 v[12:13], v[4:5], 3, v[2:3]
	v_add_u32_e32 v5, 39, v170
	v_mad_u64_u32 v[0:1], s[8:9], s18, v5, 0
	v_mov_b32_e32 v4, v1
	v_mad_u64_u32 v[4:5], s[8:9], s19, v5, v[4:5]
	v_mov_b32_e32 v1, v4
	v_add_u32_e32 v5, 0x4e, v170
	v_lshl_add_u64 v[18:19], v[0:1], 3, v[2:3]
	v_mad_u64_u32 v[0:1], s[8:9], s18, v5, 0
	v_mov_b32_e32 v4, v1
	v_mad_u64_u32 v[4:5], s[8:9], s19, v5, v[4:5]
	v_mov_b32_e32 v1, v4
	v_add_u32_e32 v5, 0x75, v170
	v_lshl_add_u64 v[20:21], v[0:1], 3, v[2:3]
	;; [unrolled: 6-line block ×13, first 2 shown]
	v_mad_u64_u32 v[0:1], s[8:9], s18, v5, 0
	v_mov_b32_e32 v4, v1
	v_mad_u64_u32 v[4:5], s[8:9], s19, v5, v[4:5]
	v_mov_b32_e32 v1, v4
	v_lshl_add_u64 v[58:59], v[0:1], 3, v[2:3]
	global_load_dwordx2 v[4:5], v[20:21], off
	global_load_dwordx2 v[6:7], v[26:27], off
	;; [unrolled: 1-line block ×12, first 2 shown]
	v_add_u32_e32 v19, 0x249, v170
	v_mad_u64_u32 v[12:13], s[8:9], s18, v19, 0
	v_mov_b32_e32 v18, v13
	v_mad_u64_u32 v[18:19], s[8:9], s19, v19, v[18:19]
	v_mov_b32_e32 v13, v18
	v_lshl_add_u64 v[12:13], v[12:13], 3, v[2:3]
	v_add_u32_e32 v19, 0x270, v170
	global_load_dwordx2 v[50:51], v[54:55], off
	global_load_dwordx2 v[46:47], v[56:57], off
	;; [unrolled: 1-line block ×4, first 2 shown]
	v_mad_u64_u32 v[12:13], s[8:9], s18, v19, 0
	v_mov_b32_e32 v18, v13
	v_mad_u64_u32 v[18:19], s[8:9], s19, v19, v[18:19]
	v_mov_b32_e32 v13, v18
	v_lshl_add_u64 v[2:3], v[12:13], 3, v[2:3]
	global_load_dwordx2 v[52:53], v[2:3], off
.LBB0_11:
	s_or_b64 exec, exec, s[6:7]
	s_waitcnt vmcnt(0)
	v_pk_add_f32 v[40:41], v[48:49], v[52:53] neg_lo:[0,1] neg_hi:[0,1]
	s_mov_b32 s46, 0xbf65296c
	v_pk_add_f32 v[34:35], v[48:49], v[52:53]
	v_pk_add_f32 v[26:27], v[4:5], v[36:37] neg_lo:[0,1] neg_hi:[0,1]
	s_mov_b32 s8, 0x3ee437d1
	v_pk_mul_f32 v[2:3], v[40:41], s[46:47] op_sel_hi:[1,0]
	s_mov_b32 s14, 0xbf4c4adb
	v_pk_add_f32 v[20:21], v[4:5], v[36:37]
	v_pk_fma_f32 v[106:107], v[34:35], s[8:9], v[2:3] op_sel:[0,0,1] op_sel_hi:[1,0,0]
	v_pk_fma_f32 v[108:109], v[34:35], s[8:9], v[2:3] op_sel:[0,0,1] op_sel_hi:[1,0,0] neg_lo:[0,0,1] neg_hi:[0,0,1]
	s_mov_b32 s12, 0xbf1a4643
	v_pk_mul_f32 v[32:33], v[26:27], s[14:15] op_sel_hi:[1,0]
	v_mov_b32_e32 v2, v108
	v_mov_b32_e32 v3, v107
	v_pk_fma_f32 v[110:111], v[20:21], s[12:13], v[32:33] op_sel:[0,0,1] op_sel_hi:[1,0,0]
	v_pk_fma_f32 v[112:113], v[20:21], s[12:13], v[32:33] op_sel:[0,0,1] op_sel_hi:[1,0,0] neg_lo:[0,0,1] neg_hi:[0,0,1]
	v_pk_add_f32 v[18:19], v[6:7], v[44:45] neg_lo:[0,1] neg_hi:[0,1]
	v_pk_add_f32 v[2:3], v[0:1], v[2:3]
	v_mov_b32_e32 v32, v112
	v_mov_b32_e32 v33, v111
	s_mov_b32 s6, 0x3e3c28d5
	v_pk_add_f32 v[12:13], v[6:7], v[44:45]
	v_pk_add_f32 v[2:3], v[2:3], v[32:33]
	s_mov_b32 s20, 0xbf7ba420
	v_pk_mul_f32 v[32:33], v[18:19], s[6:7] op_sel_hi:[1,0]
	s_mov_b32 s44, 0x3f763a35
	v_pk_fma_f32 v[114:115], v[12:13], s[20:21], v[32:33] op_sel:[0,0,1] op_sel_hi:[1,0,0]
	v_pk_fma_f32 v[116:117], v[12:13], s[20:21], v[32:33] op_sel:[0,0,1] op_sel_hi:[1,0,0] neg_lo:[0,0,1] neg_hi:[0,0,1]
	v_mov_b32_e32 v33, v115
	v_mov_b32_e32 v32, v116
	v_pk_add_f32 v[56:57], v[8:9], v[46:47] neg_lo:[0,1] neg_hi:[0,1]
	v_pk_add_f32 v[2:3], v[2:3], v[32:33]
	s_mov_b32 s18, 0xbe8c1d8e
	v_pk_add_f32 v[54:55], v[8:9], v[46:47]
	v_pk_mul_f32 v[32:33], v[56:57], s[44:45] op_sel_hi:[1,0]
	s_mov_b32 s26, 0x3f2c7751
	v_pk_fma_f32 v[118:119], v[54:55], s[18:19], v[32:33] op_sel:[0,0,1] op_sel_hi:[1,0,0]
	v_pk_fma_f32 v[120:121], v[54:55], s[18:19], v[32:33] op_sel:[0,0,1] op_sel_hi:[1,0,0] neg_lo:[0,0,1] neg_hi:[0,0,1]
	v_mov_b32_e32 v33, v119
	v_mov_b32_e32 v32, v120
	v_pk_add_f32 v[60:61], v[10:11], v[50:51] neg_lo:[0,1] neg_hi:[0,1]
	v_pk_add_f32 v[2:3], v[2:3], v[32:33]
	s_mov_b32 s22, 0x3f3d2fb0
	v_pk_add_f32 v[58:59], v[10:11], v[50:51]
	;; [unrolled: 10-line block ×5, first 2 shown]
	v_pk_mul_f32 v[32:33], v[72:73], s[34:35] op_sel_hi:[1,0]
	s_mov_b32 s38, 0xbe3c28d5
	v_pk_fma_f32 v[140:141], v[70:71], s[30:31], v[32:33] op_sel:[0,0,1] op_sel_hi:[1,0,0]
	v_pk_fma_f32 v[142:143], v[70:71], s[30:31], v[32:33] op_sel:[0,0,1] op_sel_hi:[1,0,0] neg_lo:[0,0,1] neg_hi:[0,0,1]
	v_mov_b32_e32 v33, v141
	v_mov_b32_e32 v32, v142
	v_pk_add_f32 v[32:33], v[2:3], v[32:33]
	v_pk_mul_f32 v[2:3], v[40:41], s[42:43] op_sel_hi:[1,0]
	v_pk_mul_f32 v[74:75], v[26:27], s[38:39] op_sel_hi:[1,0]
	v_pk_fma_f32 v[134:135], v[34:35], s[24:25], v[2:3] op_sel:[0,0,1] op_sel_hi:[1,0,0]
	v_pk_fma_f32 v[136:137], v[34:35], s[24:25], v[2:3] op_sel:[0,0,1] op_sel_hi:[1,0,0] neg_lo:[0,0,1] neg_hi:[0,0,1]
	v_mov_b32_e32 v3, v135
	v_mov_b32_e32 v2, v136
	v_pk_fma_f32 v[138:139], v[20:21], s[20:21], v[74:75] op_sel:[0,0,1] op_sel_hi:[1,0,0]
	v_pk_fma_f32 v[144:145], v[20:21], s[20:21], v[74:75] op_sel:[0,0,1] op_sel_hi:[1,0,0] neg_lo:[0,0,1] neg_hi:[0,0,1]
	v_pk_add_f32 v[2:3], v[0:1], v[2:3]
	v_mov_b32_e32 v74, v144
	v_mov_b32_e32 v75, v139
	v_pk_add_f32 v[2:3], v[2:3], v[74:75]
	v_pk_mul_f32 v[74:75], v[18:19], s[44:45] op_sel_hi:[1,0]
	s_mov_b32 s40, 0x3eb8f4ab
	v_pk_fma_f32 v[146:147], v[12:13], s[18:19], v[74:75] op_sel:[0,0,1] op_sel_hi:[1,0,0]
	v_pk_fma_f32 v[148:149], v[12:13], s[18:19], v[74:75] op_sel:[0,0,1] op_sel_hi:[1,0,0] neg_lo:[0,0,1] neg_hi:[0,0,1]
	v_mov_b32_e32 v75, v147
	v_mov_b32_e32 v74, v148
	v_pk_add_f32 v[2:3], v[2:3], v[74:75]
	v_pk_mul_f32 v[74:75], v[56:57], s[40:41] op_sel_hi:[1,0]
	s_mov_b32 s48, 0x3f4c4adb
	v_pk_fma_f32 v[150:151], v[54:55], s[28:29], v[74:75] op_sel:[0,0,1] op_sel_hi:[1,0,0]
	v_pk_fma_f32 v[152:153], v[54:55], s[28:29], v[74:75] op_sel:[0,0,1] op_sel_hi:[1,0,0] neg_lo:[0,0,1] neg_hi:[0,0,1]
	v_mov_b32_e32 v75, v151
	v_mov_b32_e32 v74, v152
	v_pk_add_f32 v[2:3], v[2:3], v[74:75]
	v_pk_mul_f32 v[74:75], v[60:61], s[46:47] op_sel_hi:[1,0]
	s_nop 0
	v_pk_fma_f32 v[154:155], v[58:59], s[8:9], v[74:75] op_sel:[0,0,1] op_sel_hi:[1,0,0]
	v_pk_fma_f32 v[156:157], v[58:59], s[8:9], v[74:75] op_sel:[0,0,1] op_sel_hi:[1,0,0] neg_lo:[0,0,1] neg_hi:[0,0,1]
	v_mov_b32_e32 v75, v155
	v_mov_b32_e32 v74, v156
	v_pk_add_f32 v[2:3], v[2:3], v[74:75]
	v_pk_mul_f32 v[74:75], v[64:65], s[34:35] op_sel_hi:[1,0]
	s_nop 0
	;; [unrolled: 7-line block ×4, first 2 shown]
	v_pk_fma_f32 v[166:167], v[70:71], s[22:23], v[74:75] op_sel:[0,0,1] op_sel_hi:[1,0,0]
	v_pk_fma_f32 v[168:169], v[70:71], s[22:23], v[74:75] op_sel:[0,0,1] op_sel_hi:[1,0,0] neg_lo:[0,0,1] neg_hi:[0,0,1]
	v_mov_b32_e32 v75, v167
	v_mov_b32_e32 v74, v168
	v_pk_add_f32 v[2:3], v[2:3], v[74:75]
	s_and_saveexec_b64 s[6:7], s[0:1]
	s_cbranch_execz .LBB0_13
; %bb.12:
	v_pk_add_f32 v[48:49], v[0:1], v[48:49]
	s_mov_b32 s52, 0xbf2c7751
	v_pk_add_f32 v[4:5], v[48:49], v[4:5]
	s_mov_b32 s0, 0xbf763a35
	v_pk_add_f32 v[4:5], v[4:5], v[6:7]
	v_pk_mul_f32 v[6:7], v[40:41], s[36:37] op_sel_hi:[1,0]
	v_pk_add_f32 v[4:5], v[4:5], v[8:9]
	v_pk_mul_f32 v[80:81], v[26:27], s[42:43] op_sel_hi:[1,0]
	;; [unrolled: 2-line block ×3, first 2 shown]
	v_pk_add_f32 v[4:5], v[4:5], v[14:15]
	s_mov_b32 s54, 0x3f06c442
	v_pk_add_f32 v[4:5], v[4:5], v[22:23]
	v_mov_b32_e32 v107, v109
	v_pk_add_f32 v[4:5], v[4:5], v[38:39]
	s_mov_b32 s50, 0x3f65296c
	v_pk_add_f32 v[4:5], v[4:5], v[42:43]
	v_mov_b32_e32 v111, v113
	v_pk_add_f32 v[4:5], v[24:25], v[4:5]
	v_pk_add_f32 v[106:107], v[0:1], v[106:107]
	;; [unrolled: 1-line block ×5, first 2 shown]
	v_mov_b32_e32 v115, v117
	v_pk_add_f32 v[4:5], v[46:47], v[4:5]
	v_pk_add_f32 v[106:107], v[106:107], v[114:115]
	;; [unrolled: 1-line block ×3, first 2 shown]
	v_mov_b32_e32 v119, v121
	v_pk_add_f32 v[4:5], v[36:37], v[4:5]
	v_pk_add_f32 v[106:107], v[106:107], v[118:119]
	;; [unrolled: 1-line block ×3, first 2 shown]
	v_pk_fma_f32 v[4:5], v[34:35], s[28:29], v[6:7] op_sel:[0,0,1] op_sel_hi:[1,0,0]
	v_pk_fma_f32 v[6:7], v[34:35], s[28:29], v[6:7] op_sel:[0,0,1] op_sel_hi:[1,0,0] neg_lo:[0,0,1] neg_hi:[0,0,1]
	v_mov_b32_e32 v8, v4
	v_mov_b32_e32 v9, v7
	v_pk_add_f32 v[14:15], v[0:1], v[8:9]
	v_pk_fma_f32 v[8:9], v[20:21], s[22:23], v[10:11] op_sel:[0,0,1] op_sel_hi:[1,0,0]
	v_pk_fma_f32 v[10:11], v[20:21], s[22:23], v[10:11] op_sel:[0,0,1] op_sel_hi:[1,0,0] neg_lo:[0,0,1] neg_hi:[0,0,1]
	v_mov_b32_e32 v16, v8
	v_mov_b32_e32 v17, v11
	v_pk_add_f32 v[22:23], v[14:15], v[16:17]
	v_pk_mul_f32 v[16:17], v[18:19], s[46:47] op_sel_hi:[1,0]
	v_mov_b32_e32 v123, v125
	v_pk_fma_f32 v[14:15], v[12:13], s[8:9], v[16:17] op_sel:[0,0,1] op_sel_hi:[1,0,0]
	v_pk_fma_f32 v[16:17], v[12:13], s[8:9], v[16:17] op_sel:[0,0,1] op_sel_hi:[1,0,0] neg_lo:[0,0,1] neg_hi:[0,0,1]
	v_mov_b32_e32 v24, v14
	v_mov_b32_e32 v25, v17
	v_pk_add_f32 v[36:37], v[22:23], v[24:25]
	v_pk_mul_f32 v[24:25], v[56:57], s[42:43] op_sel_hi:[1,0]
	v_pk_add_f32 v[106:107], v[106:107], v[122:123]
	v_pk_fma_f32 v[22:23], v[54:55], s[24:25], v[24:25] op_sel:[0,0,1] op_sel_hi:[1,0,0]
	v_pk_fma_f32 v[24:25], v[54:55], s[24:25], v[24:25] op_sel:[0,0,1] op_sel_hi:[1,0,0] neg_lo:[0,0,1] neg_hi:[0,0,1]
	v_mov_b32_e32 v38, v22
	v_mov_b32_e32 v39, v25
	v_pk_add_f32 v[42:43], v[36:37], v[38:39]
	v_pk_mul_f32 v[38:39], v[60:61], s[0:1] op_sel_hi:[1,0]
	s_movk_i32 s1, 0x88
	v_pk_fma_f32 v[36:37], v[58:59], s[18:19], v[38:39] op_sel:[0,0,1] op_sel_hi:[1,0,0]
	v_pk_fma_f32 v[38:39], v[58:59], s[18:19], v[38:39] op_sel:[0,0,1] op_sel_hi:[1,0,0] neg_lo:[0,0,1] neg_hi:[0,0,1]
	v_mov_b32_e32 v44, v36
	v_mov_b32_e32 v45, v39
	v_pk_add_f32 v[46:47], v[42:43], v[44:45]
	v_pk_mul_f32 v[44:45], v[64:65], s[14:15] op_sel_hi:[1,0]
	v_mad_u32_u24 v4, v170, s1, 0
	v_pk_fma_f32 v[42:43], v[62:63], s[12:13], v[44:45] op_sel:[0,0,1] op_sel_hi:[1,0,0]
	v_pk_fma_f32 v[44:45], v[62:63], s[12:13], v[44:45] op_sel:[0,0,1] op_sel_hi:[1,0,0] neg_lo:[0,0,1] neg_hi:[0,0,1]
	v_mov_b32_e32 v48, v42
	v_mov_b32_e32 v49, v45
	v_pk_add_f32 v[50:51], v[46:47], v[48:49]
	v_pk_mul_f32 v[48:49], v[68:69], s[34:35] op_sel_hi:[1,0]
	v_mov_b32_e32 v127, v129
	v_pk_fma_f32 v[46:47], v[66:67], s[30:31], v[48:49] op_sel:[0,0,1] op_sel_hi:[1,0,0]
	v_pk_fma_f32 v[48:49], v[66:67], s[30:31], v[48:49] op_sel:[0,0,1] op_sel_hi:[1,0,0] neg_lo:[0,0,1] neg_hi:[0,0,1]
	v_mov_b32_e32 v52, v46
	v_mov_b32_e32 v53, v49
	v_pk_add_f32 v[76:77], v[50:51], v[52:53]
	v_pk_mul_f32 v[52:53], v[72:73], s[38:39] op_sel_hi:[1,0]
	v_pk_add_f32 v[106:107], v[106:107], v[126:127]
	v_pk_fma_f32 v[50:51], v[70:71], s[20:21], v[52:53] op_sel:[0,0,1] op_sel_hi:[1,0,0]
	v_pk_fma_f32 v[52:53], v[70:71], s[20:21], v[52:53] op_sel:[0,0,1] op_sel_hi:[1,0,0] neg_lo:[0,0,1] neg_hi:[0,0,1]
	v_mov_b32_e32 v78, v50
	v_mov_b32_e32 v79, v53
	v_pk_add_f32 v[76:77], v[76:77], v[78:79]
	ds_write2_b64 v4, v[74:75], v[76:77] offset1:1
	v_pk_mul_f32 v[76:77], v[40:41], s[52:53] op_sel_hi:[1,0]
	v_mov_b32_e32 v131, v133
	v_pk_fma_f32 v[74:75], v[34:35], s[22:23], v[76:77] op_sel:[0,0,1] op_sel_hi:[1,0,0]
	v_pk_fma_f32 v[76:77], v[34:35], s[22:23], v[76:77] op_sel:[0,0,1] op_sel_hi:[1,0,0] neg_lo:[0,0,1] neg_hi:[0,0,1]
	v_mov_b32_e32 v78, v74
	v_mov_b32_e32 v79, v77
	v_pk_add_f32 v[82:83], v[0:1], v[78:79]
	v_pk_fma_f32 v[78:79], v[20:21], s[24:25], v[80:81] op_sel:[0,0,1] op_sel_hi:[1,0,0]
	v_pk_fma_f32 v[80:81], v[20:21], s[24:25], v[80:81] op_sel:[0,0,1] op_sel_hi:[1,0,0] neg_lo:[0,0,1] neg_hi:[0,0,1]
	v_mov_b32_e32 v84, v78
	v_mov_b32_e32 v85, v81
	v_pk_add_f32 v[86:87], v[82:83], v[84:85]
	v_pk_mul_f32 v[84:85], v[18:19], s[14:15] op_sel_hi:[1,0]
	v_pk_add_f32 v[106:107], v[106:107], v[130:131]
	v_pk_fma_f32 v[82:83], v[12:13], s[12:13], v[84:85] op_sel:[0,0,1] op_sel_hi:[1,0,0]
	v_pk_fma_f32 v[84:85], v[12:13], s[12:13], v[84:85] op_sel:[0,0,1] op_sel_hi:[1,0,0] neg_lo:[0,0,1] neg_hi:[0,0,1]
	v_mov_b32_e32 v88, v82
	v_mov_b32_e32 v89, v85
	v_pk_add_f32 v[90:91], v[86:87], v[88:89]
	v_pk_mul_f32 v[88:89], v[56:57], s[38:39] op_sel_hi:[1,0]
	v_mov_b32_e32 v141, v143
	v_pk_fma_f32 v[86:87], v[54:55], s[20:21], v[88:89] op_sel:[0,0,1] op_sel_hi:[1,0,0]
	v_pk_fma_f32 v[88:89], v[54:55], s[20:21], v[88:89] op_sel:[0,0,1] op_sel_hi:[1,0,0] neg_lo:[0,0,1] neg_hi:[0,0,1]
	v_mov_b32_e32 v92, v86
	v_mov_b32_e32 v93, v89
	v_pk_add_f32 v[94:95], v[90:91], v[92:93]
	v_pk_mul_f32 v[92:93], v[60:61], s[54:55] op_sel_hi:[1,0]
	v_pk_add_f32 v[106:107], v[106:107], v[140:141]
	v_pk_fma_f32 v[90:91], v[58:59], s[30:31], v[92:93] op_sel:[0,0,1] op_sel_hi:[1,0,0]
	v_pk_fma_f32 v[92:93], v[58:59], s[30:31], v[92:93] op_sel:[0,0,1] op_sel_hi:[1,0,0] neg_lo:[0,0,1] neg_hi:[0,0,1]
	v_mov_b32_e32 v96, v90
	v_mov_b32_e32 v97, v93
	v_pk_add_f32 v[98:99], v[94:95], v[96:97]
	v_pk_mul_f32 v[96:97], v[64:65], s[44:45] op_sel_hi:[1,0]
	v_mov_b32_e32 v135, v137
	v_pk_fma_f32 v[94:95], v[62:63], s[18:19], v[96:97] op_sel:[0,0,1] op_sel_hi:[1,0,0]
	v_pk_fma_f32 v[96:97], v[62:63], s[18:19], v[96:97] op_sel:[0,0,1] op_sel_hi:[1,0,0] neg_lo:[0,0,1] neg_hi:[0,0,1]
	v_mov_b32_e32 v100, v94
	v_mov_b32_e32 v101, v97
	v_pk_add_f32 v[102:103], v[98:99], v[100:101]
	v_pk_mul_f32 v[100:101], v[68:69], s[50:51] op_sel_hi:[1,0]
	v_mov_b32_e32 v139, v145
	;; [unrolled: 7-line block ×3, first 2 shown]
	v_pk_fma_f32 v[102:103], v[70:71], s[28:29], v[104:105] op_sel:[0,0,1] op_sel_hi:[1,0,0]
	v_pk_fma_f32 v[104:105], v[70:71], s[28:29], v[104:105] op_sel:[0,0,1] op_sel_hi:[1,0,0] neg_lo:[0,0,1] neg_hi:[0,0,1]
	v_mov_b32_e32 v174, v102
	v_mov_b32_e32 v175, v105
	v_pk_add_f32 v[172:173], v[172:173], v[174:175]
	ds_write2_b64 v4, v[172:173], v[106:107] offset0:2 offset1:3
	v_pk_add_f32 v[106:107], v[0:1], v[134:135]
	v_mov_b32_e32 v151, v153
	v_pk_add_f32 v[106:107], v[106:107], v[138:139]
	v_mov_b32_e32 v155, v157
	v_pk_add_f32 v[106:107], v[106:107], v[146:147]
	v_mov_b32_e32 v159, v161
	v_pk_add_f32 v[106:107], v[106:107], v[150:151]
	v_mov_b32_e32 v163, v165
	v_pk_add_f32 v[106:107], v[106:107], v[154:155]
	v_mov_b32_e32 v167, v169
	v_pk_add_f32 v[106:107], v[106:107], v[158:159]
	v_pk_mul_f32 v[108:109], v[40:41], s[0:1] op_sel_hi:[1,0]
	v_pk_add_f32 v[106:107], v[106:107], v[162:163]
	v_pk_mul_f32 v[112:113], v[26:27], s[54:55] op_sel_hi:[1,0]
	v_pk_add_f32 v[138:139], v[106:107], v[166:167]
	v_pk_fma_f32 v[106:107], v[34:35], s[18:19], v[108:109] op_sel:[0,0,1] op_sel_hi:[1,0,0]
	v_pk_fma_f32 v[108:109], v[34:35], s[18:19], v[108:109] op_sel:[0,0,1] op_sel_hi:[1,0,0] neg_lo:[0,0,1] neg_hi:[0,0,1]
	v_mov_b32_e32 v110, v106
	v_mov_b32_e32 v111, v109
	v_pk_add_f32 v[114:115], v[0:1], v[110:111]
	v_pk_fma_f32 v[110:111], v[20:21], s[30:31], v[112:113] op_sel:[0,0,1] op_sel_hi:[1,0,0]
	v_pk_fma_f32 v[112:113], v[20:21], s[30:31], v[112:113] op_sel:[0,0,1] op_sel_hi:[1,0,0] neg_lo:[0,0,1] neg_hi:[0,0,1]
	v_mov_b32_e32 v116, v110
	v_mov_b32_e32 v117, v113
	v_pk_add_f32 v[118:119], v[114:115], v[116:117]
	v_pk_mul_f32 v[116:117], v[18:19], s[26:27] op_sel_hi:[1,0]
	v_pk_mul_f32 v[144:145], v[26:27], s[44:45] op_sel_hi:[1,0]
	v_pk_fma_f32 v[114:115], v[12:13], s[22:23], v[116:117] op_sel:[0,0,1] op_sel_hi:[1,0,0]
	v_pk_fma_f32 v[116:117], v[12:13], s[22:23], v[116:117] op_sel:[0,0,1] op_sel_hi:[1,0,0] neg_lo:[0,0,1] neg_hi:[0,0,1]
	v_mov_b32_e32 v120, v114
	v_mov_b32_e32 v121, v117
	v_pk_add_f32 v[122:123], v[118:119], v[120:121]
	v_pk_mul_f32 v[120:121], v[56:57], s[46:47] op_sel_hi:[1,0]
	s_mov_b32 s46, 0x3f7ee86f
	v_pk_fma_f32 v[118:119], v[54:55], s[8:9], v[120:121] op_sel:[0,0,1] op_sel_hi:[1,0,0]
	v_pk_fma_f32 v[120:121], v[54:55], s[8:9], v[120:121] op_sel:[0,0,1] op_sel_hi:[1,0,0] neg_lo:[0,0,1] neg_hi:[0,0,1]
	v_mov_b32_e32 v124, v118
	v_mov_b32_e32 v125, v121
	v_pk_add_f32 v[126:127], v[122:123], v[124:125]
	v_pk_mul_f32 v[124:125], v[60:61], s[38:39] op_sel_hi:[1,0]
	v_pk_fma_f32 v[146:147], v[20:21], s[18:19], v[144:145] op_sel:[0,0,1] op_sel_hi:[1,0,0]
	v_pk_fma_f32 v[122:123], v[58:59], s[20:21], v[124:125] op_sel:[0,0,1] op_sel_hi:[1,0,0]
	v_pk_fma_f32 v[124:125], v[58:59], s[20:21], v[124:125] op_sel:[0,0,1] op_sel_hi:[1,0,0] neg_lo:[0,0,1] neg_hi:[0,0,1]
	v_mov_b32_e32 v128, v122
	v_mov_b32_e32 v129, v125
	v_pk_add_f32 v[130:131], v[126:127], v[128:129]
	v_pk_mul_f32 v[128:129], v[64:65], s[46:47] op_sel_hi:[1,0]
	v_pk_fma_f32 v[144:145], v[20:21], s[18:19], v[144:145] op_sel:[0,0,1] op_sel_hi:[1,0,0] neg_lo:[0,0,1] neg_hi:[0,0,1]
	v_pk_fma_f32 v[126:127], v[62:63], s[24:25], v[128:129] op_sel:[0,0,1] op_sel_hi:[1,0,0]
	v_pk_fma_f32 v[128:129], v[62:63], s[24:25], v[128:129] op_sel:[0,0,1] op_sel_hi:[1,0,0] neg_lo:[0,0,1] neg_hi:[0,0,1]
	v_mov_b32_e32 v132, v126
	v_mov_b32_e32 v133, v129
	v_pk_add_f32 v[134:135], v[130:131], v[132:133]
	v_pk_mul_f32 v[132:133], v[68:69], s[36:37] op_sel_hi:[1,0]
	v_mov_b32_e32 v148, v146
	v_pk_fma_f32 v[130:131], v[66:67], s[28:29], v[132:133] op_sel:[0,0,1] op_sel_hi:[1,0,0]
	v_pk_fma_f32 v[132:133], v[66:67], s[28:29], v[132:133] op_sel:[0,0,1] op_sel_hi:[1,0,0] neg_lo:[0,0,1] neg_hi:[0,0,1]
	v_mov_b32_e32 v136, v130
	v_mov_b32_e32 v137, v133
	v_pk_add_f32 v[140:141], v[134:135], v[136:137]
	v_pk_mul_f32 v[136:137], v[72:73], s[14:15] op_sel_hi:[1,0]
	v_mov_b32_e32 v149, v145
	v_pk_fma_f32 v[134:135], v[70:71], s[12:13], v[136:137] op_sel:[0,0,1] op_sel_hi:[1,0,0]
	v_pk_fma_f32 v[136:137], v[70:71], s[12:13], v[136:137] op_sel:[0,0,1] op_sel_hi:[1,0,0] neg_lo:[0,0,1] neg_hi:[0,0,1]
	v_mov_b32_e32 v142, v134
	v_mov_b32_e32 v143, v137
	v_pk_add_f32 v[140:141], v[140:141], v[142:143]
	ds_write2_b64 v4, v[138:139], v[140:141] offset0:4 offset1:5
	v_pk_mul_f32 v[138:139], v[40:41], s[14:15] op_sel_hi:[1,0]
	v_pk_mul_f32 v[180:181], v[26:27], s[50:51] op_sel_hi:[1,0]
	v_pk_fma_f32 v[140:141], v[34:35], s[12:13], v[138:139] op_sel:[0,0,1] op_sel_hi:[1,0,0]
	v_pk_fma_f32 v[138:139], v[34:35], s[12:13], v[138:139] op_sel:[0,0,1] op_sel_hi:[1,0,0] neg_lo:[0,0,1] neg_hi:[0,0,1]
	v_mov_b32_e32 v142, v140
	v_mov_b32_e32 v143, v139
	v_pk_add_f32 v[142:143], v[0:1], v[142:143]
	v_pk_fma_f32 v[182:183], v[20:21], s[8:9], v[180:181] op_sel:[0,0,1] op_sel_hi:[1,0,0]
	v_pk_add_f32 v[142:143], v[142:143], v[148:149]
	v_pk_mul_f32 v[148:149], v[18:19], s[36:37] op_sel_hi:[1,0]
	v_pk_fma_f32 v[180:181], v[20:21], s[8:9], v[180:181] op_sel:[0,0,1] op_sel_hi:[1,0,0] neg_lo:[0,0,1] neg_hi:[0,0,1]
	v_pk_fma_f32 v[150:151], v[12:13], s[28:29], v[148:149] op_sel:[0,0,1] op_sel_hi:[1,0,0]
	v_pk_fma_f32 v[148:149], v[12:13], s[28:29], v[148:149] op_sel:[0,0,1] op_sel_hi:[1,0,0] neg_lo:[0,0,1] neg_hi:[0,0,1]
	v_mov_b32_e32 v152, v150
	v_mov_b32_e32 v153, v149
	v_pk_add_f32 v[142:143], v[142:143], v[152:153]
	v_pk_mul_f32 v[152:153], v[56:57], s[34:35] op_sel_hi:[1,0]
	v_mov_b32_e32 v184, v182
	v_pk_fma_f32 v[154:155], v[54:55], s[30:31], v[152:153] op_sel:[0,0,1] op_sel_hi:[1,0,0]
	v_pk_fma_f32 v[152:153], v[54:55], s[30:31], v[152:153] op_sel:[0,0,1] op_sel_hi:[1,0,0] neg_lo:[0,0,1] neg_hi:[0,0,1]
	v_mov_b32_e32 v156, v154
	v_mov_b32_e32 v157, v153
	v_pk_add_f32 v[142:143], v[142:143], v[156:157]
	v_pk_mul_f32 v[156:157], v[60:61], s[46:47] op_sel_hi:[1,0]
	v_mov_b32_e32 v185, v181
	v_pk_fma_f32 v[158:159], v[58:59], s[24:25], v[156:157] op_sel:[0,0,1] op_sel_hi:[1,0,0]
	v_pk_fma_f32 v[156:157], v[58:59], s[24:25], v[156:157] op_sel:[0,0,1] op_sel_hi:[1,0,0] neg_lo:[0,0,1] neg_hi:[0,0,1]
	v_mov_b32_e32 v160, v158
	v_mov_b32_e32 v161, v157
	v_pk_add_f32 v[142:143], v[142:143], v[160:161]
	v_pk_mul_f32 v[160:161], v[64:65], s[52:53] op_sel_hi:[1,0]
	v_pk_mul_f32 v[26:27], v[26:27], s[40:41] op_sel_hi:[1,0]
	v_pk_fma_f32 v[162:163], v[62:63], s[22:23], v[160:161] op_sel:[0,0,1] op_sel_hi:[1,0,0]
	v_pk_fma_f32 v[160:161], v[62:63], s[22:23], v[160:161] op_sel:[0,0,1] op_sel_hi:[1,0,0] neg_lo:[0,0,1] neg_hi:[0,0,1]
	v_mov_b32_e32 v164, v162
	v_mov_b32_e32 v165, v161
	v_pk_add_f32 v[142:143], v[142:143], v[164:165]
	v_pk_mul_f32 v[164:165], v[68:69], s[38:39] op_sel_hi:[1,0]
	v_mov_b32_e32 v139, v141
	v_pk_fma_f32 v[166:167], v[66:67], s[20:21], v[164:165] op_sel:[0,0,1] op_sel_hi:[1,0,0]
	v_pk_fma_f32 v[164:165], v[66:67], s[20:21], v[164:165] op_sel:[0,0,1] op_sel_hi:[1,0,0] neg_lo:[0,0,1] neg_hi:[0,0,1]
	v_mov_b32_e32 v168, v166
	v_mov_b32_e32 v169, v165
	v_pk_add_f32 v[142:143], v[142:143], v[168:169]
	v_pk_mul_f32 v[168:169], v[72:73], s[50:51] op_sel_hi:[1,0]
	v_mov_b32_e32 v181, v183
	v_pk_fma_f32 v[172:173], v[70:71], s[8:9], v[168:169] op_sel:[0,0,1] op_sel_hi:[1,0,0]
	v_pk_fma_f32 v[168:169], v[70:71], s[8:9], v[168:169] op_sel:[0,0,1] op_sel_hi:[1,0,0] neg_lo:[0,0,1] neg_hi:[0,0,1]
	v_mov_b32_e32 v174, v172
	v_mov_b32_e32 v175, v169
	v_pk_add_f32 v[142:143], v[142:143], v[174:175]
	v_pk_mul_f32 v[174:175], v[40:41], s[34:35] op_sel_hi:[1,0]
	v_pk_mul_f32 v[40:41], v[40:41], s[38:39] op_sel_hi:[1,0]
	v_pk_fma_f32 v[176:177], v[34:35], s[30:31], v[174:175] op_sel:[0,0,1] op_sel_hi:[1,0,0]
	v_pk_fma_f32 v[174:175], v[34:35], s[30:31], v[174:175] op_sel:[0,0,1] op_sel_hi:[1,0,0] neg_lo:[0,0,1] neg_hi:[0,0,1]
	v_mov_b32_e32 v178, v176
	v_mov_b32_e32 v179, v175
	v_pk_add_f32 v[178:179], v[0:1], v[178:179]
	v_mov_b32_e32 v175, v177
	v_pk_add_f32 v[178:179], v[178:179], v[184:185]
	v_pk_mul_f32 v[184:185], v[18:19], s[42:43] op_sel_hi:[1,0]
	v_pk_mul_f32 v[18:19], v[18:19], s[34:35] op_sel_hi:[1,0]
	v_pk_fma_f32 v[186:187], v[12:13], s[24:25], v[184:185] op_sel:[0,0,1] op_sel_hi:[1,0,0]
	v_pk_fma_f32 v[184:185], v[12:13], s[24:25], v[184:185] op_sel:[0,0,1] op_sel_hi:[1,0,0] neg_lo:[0,0,1] neg_hi:[0,0,1]
	v_mov_b32_e32 v188, v186
	v_mov_b32_e32 v189, v185
	v_pk_add_f32 v[178:179], v[178:179], v[188:189]
	v_pk_mul_f32 v[188:189], v[56:57], s[48:49] op_sel_hi:[1,0]
	v_mov_b32_e32 v145, v147
	v_pk_fma_f32 v[190:191], v[54:55], s[12:13], v[188:189] op_sel:[0,0,1] op_sel_hi:[1,0,0]
	v_pk_fma_f32 v[188:189], v[54:55], s[12:13], v[188:189] op_sel:[0,0,1] op_sel_hi:[1,0,0] neg_lo:[0,0,1] neg_hi:[0,0,1]
	v_mov_b32_e32 v192, v190
	v_mov_b32_e32 v193, v189
	v_pk_add_f32 v[178:179], v[178:179], v[192:193]
	v_pk_mul_f32 v[192:193], v[60:61], s[36:37] op_sel_hi:[1,0]
	v_mov_b32_e32 v185, v187
	;; [unrolled: 7-line block ×5, first 2 shown]
	v_pk_fma_f32 v[206:207], v[70:71], s[18:19], v[204:205] op_sel:[0,0,1] op_sel_hi:[1,0,0]
	v_pk_fma_f32 v[204:205], v[70:71], s[18:19], v[204:205] op_sel:[0,0,1] op_sel_hi:[1,0,0] neg_lo:[0,0,1] neg_hi:[0,0,1]
	v_mov_b32_e32 v208, v206
	v_mov_b32_e32 v209, v205
	v_pk_add_f32 v[178:179], v[178:179], v[208:209]
	ds_write2_b64 v4, v[142:143], v[178:179] offset0:6 offset1:7
	v_pk_fma_f32 v[142:143], v[34:35], s[20:21], v[40:41] op_sel:[0,0,1] op_sel_hi:[1,0,0]
	v_pk_fma_f32 v[34:35], v[34:35], s[20:21], v[40:41] op_sel:[0,0,1] op_sel_hi:[1,0,0] neg_lo:[0,0,1] neg_hi:[0,0,1]
	v_pk_fma_f32 v[40:41], v[20:21], s[28:29], v[26:27] op_sel:[0,0,1] op_sel_hi:[1,0,0]
	v_pk_fma_f32 v[20:21], v[20:21], s[28:29], v[26:27] op_sel:[0,0,1] op_sel_hi:[1,0,0] neg_lo:[0,0,1] neg_hi:[0,0,1]
	v_mov_b32_e32 v26, v142
	v_mov_b32_e32 v27, v35
	v_pk_add_f32 v[26:27], v[0:1], v[26:27]
	v_mov_b32_e32 v178, v40
	v_mov_b32_e32 v179, v21
	v_pk_add_f32 v[26:27], v[26:27], v[178:179]
	v_pk_fma_f32 v[178:179], v[12:13], s[30:31], v[18:19] op_sel:[0,0,1] op_sel_hi:[1,0,0]
	v_pk_fma_f32 v[12:13], v[12:13], s[30:31], v[18:19] op_sel:[0,0,1] op_sel_hi:[1,0,0] neg_lo:[0,0,1] neg_hi:[0,0,1]
	v_mov_b32_e32 v18, v178
	v_mov_b32_e32 v19, v13
	v_pk_add_f32 v[18:19], v[26:27], v[18:19]
	v_pk_mul_f32 v[26:27], v[56:57], s[26:27] op_sel_hi:[1,0]
	v_mov_b32_e32 v35, v143
	v_pk_fma_f32 v[56:57], v[54:55], s[22:23], v[26:27] op_sel:[0,0,1] op_sel_hi:[1,0,0]
	v_pk_fma_f32 v[26:27], v[54:55], s[22:23], v[26:27] op_sel:[0,0,1] op_sel_hi:[1,0,0] neg_lo:[0,0,1] neg_hi:[0,0,1]
	v_mov_b32_e32 v54, v56
	v_mov_b32_e32 v55, v27
	v_pk_add_f32 v[18:19], v[18:19], v[54:55]
	v_pk_mul_f32 v[54:55], v[60:61], s[14:15] op_sel_hi:[1,0]
	v_mov_b32_e32 v21, v41
	v_pk_fma_f32 v[60:61], v[58:59], s[12:13], v[54:55] op_sel:[0,0,1] op_sel_hi:[1,0,0]
	v_pk_fma_f32 v[54:55], v[58:59], s[12:13], v[54:55] op_sel:[0,0,1] op_sel_hi:[1,0,0] neg_lo:[0,0,1] neg_hi:[0,0,1]
	v_mov_b32_e32 v58, v60
	v_mov_b32_e32 v59, v55
	v_pk_add_f32 v[18:19], v[18:19], v[58:59]
	v_pk_mul_f32 v[58:59], v[64:65], s[50:51] op_sel_hi:[1,0]
	v_pk_add_f32 v[34:35], v[0:1], v[34:35]
	v_pk_fma_f32 v[64:65], v[62:63], s[8:9], v[58:59] op_sel:[0,0,1] op_sel_hi:[1,0,0]
	v_pk_fma_f32 v[58:59], v[62:63], s[8:9], v[58:59] op_sel:[0,0,1] op_sel_hi:[1,0,0] neg_lo:[0,0,1] neg_hi:[0,0,1]
	v_mov_b32_e32 v62, v64
	v_mov_b32_e32 v63, v59
	v_pk_add_f32 v[18:19], v[18:19], v[62:63]
	v_pk_mul_f32 v[62:63], v[68:69], s[0:1] op_sel_hi:[1,0]
	v_pk_add_f32 v[20:21], v[34:35], v[20:21]
	v_mov_b32_e32 v13, v179
	v_pk_fma_f32 v[68:69], v[66:67], s[18:19], v[62:63] op_sel:[0,0,1] op_sel_hi:[1,0,0]
	v_pk_fma_f32 v[62:63], v[66:67], s[18:19], v[62:63] op_sel:[0,0,1] op_sel_hi:[1,0,0] neg_lo:[0,0,1] neg_hi:[0,0,1]
	v_pk_add_f32 v[12:13], v[20:21], v[12:13]
	v_mov_b32_e32 v27, v57
	v_mov_b32_e32 v66, v68
	;; [unrolled: 1-line block ×3, first 2 shown]
	v_pk_add_f32 v[12:13], v[12:13], v[26:27]
	v_mov_b32_e32 v55, v61
	v_pk_add_f32 v[18:19], v[18:19], v[66:67]
	v_pk_mul_f32 v[66:67], v[72:73], s[46:47] op_sel_hi:[1,0]
	v_pk_add_f32 v[12:13], v[12:13], v[54:55]
	v_mov_b32_e32 v59, v65
	v_pk_fma_f32 v[72:73], v[70:71], s[24:25], v[66:67] op_sel:[0,0,1] op_sel_hi:[1,0,0]
	v_pk_fma_f32 v[66:67], v[70:71], s[24:25], v[66:67] op_sel:[0,0,1] op_sel_hi:[1,0,0] neg_lo:[0,0,1] neg_hi:[0,0,1]
	v_pk_add_f32 v[12:13], v[12:13], v[58:59]
	v_mov_b32_e32 v63, v69
	v_mov_b32_e32 v70, v72
	v_mov_b32_e32 v71, v67
	v_pk_add_f32 v[12:13], v[12:13], v[62:63]
	v_mov_b32_e32 v67, v73
	v_pk_add_f32 v[18:19], v[18:19], v[70:71]
	v_pk_add_f32 v[12:13], v[12:13], v[66:67]
	ds_write2_b64 v4, v[18:19], v[12:13] offset0:8 offset1:9
	v_pk_add_f32 v[12:13], v[0:1], v[174:175]
	v_pk_add_f32 v[18:19], v[0:1], v[138:139]
	;; [unrolled: 1-line block ×7, first 2 shown]
	v_mov_b32_e32 v193, v195
	v_pk_add_f32 v[18:19], v[18:19], v[152:153]
	v_mov_b32_e32 v157, v159
	v_pk_add_f32 v[12:13], v[12:13], v[192:193]
	;; [unrolled: 2-line block ×8, first 2 shown]
	v_pk_add_f32 v[18:19], v[18:19], v[168:169]
	v_mov_b32_e32 v109, v107
	ds_write2_b64 v4, v[12:13], v[18:19] offset0:10 offset1:11
	v_pk_add_f32 v[12:13], v[0:1], v[108:109]
	v_mov_b32_e32 v113, v111
	v_pk_add_f32 v[12:13], v[12:13], v[112:113]
	v_mov_b32_e32 v117, v115
	;; [unrolled: 2-line block ×8, first 2 shown]
	v_mov_b32_e32 v7, v5
	ds_write2_b64 v4, v[12:13], v[2:3] offset0:12 offset1:13
	v_pk_add_f32 v[12:13], v[0:1], v[76:77]
	v_mov_b32_e32 v81, v79
	v_pk_add_f32 v[0:1], v[0:1], v[6:7]
	v_mov_b32_e32 v11, v9
	;; [unrolled: 2-line block ×14, first 2 shown]
	v_pk_add_f32 v[12:13], v[12:13], v[104:105]
	v_pk_add_f32 v[0:1], v[0:1], v[52:53]
	ds_write2_b64 v4, v[32:33], v[12:13] offset0:14 offset1:15
	ds_write_b64 v4, v[0:1] offset:128
.LBB0_13:
	s_or_b64 exec, exec, s[6:7]
	s_movk_i32 s0, 0xf1
	v_mul_lo_u16_sdwa v0, v170, s0 dst_sel:DWORD dst_unused:UNUSED_PAD src0_sel:BYTE_0 src1_sel:DWORD
	v_lshrrev_b16_e32 v54, 12, v0
	v_mul_lo_u16_e32 v0, 17, v54
	v_sub_u16_e32 v55, v170, v0
	v_mov_b32_e32 v0, 12
	v_mul_u32_u24_sdwa v0, v55, v0 dst_sel:DWORD dst_unused:UNUSED_PAD src0_sel:BYTE_0 src1_sel:DWORD
	v_lshlrev_b32_e32 v56, 3, v0
	s_load_dwordx2 s[2:3], s[2:3], 0x0
	s_waitcnt lgkmcnt(0)
	; wave barrier
	s_waitcnt lgkmcnt(0)
	global_load_dwordx4 v[8:11], v56, s[4:5] offset:16
	global_load_dwordx4 v[12:15], v56, s[4:5] offset:32
	global_load_dwordx4 v[16:19], v56, s[4:5] offset:48
	global_load_dwordx4 v[20:23], v56, s[4:5] offset:64
	global_load_dwordx4 v[24:27], v56, s[4:5] offset:80
	v_lshl_add_u32 v60, v170, 3, 0
	v_mov_b32_e32 v57, 3
	v_add_u32_e32 v50, 0xc00, v60
	v_mul_u32_u24_e32 v54, 0x6e8, v54
	v_lshlrev_b32_sdwa v55, v57, v55 dst_sel:DWORD dst_unused:UNUSED_PAD src0_sel:DWORD src1_sel:BYTE_0
	ds_read2_b64 v[4:7], v60 offset1:51
	ds_read2_b64 v[34:37], v60 offset0:102 offset1:153
	ds_read2_b64 v[38:41], v60 offset0:204 offset1:255
	v_add_u32_e32 v61, 0x800, v60
	ds_read_b64 v[0:1], v60 offset:4896
	ds_read2_b64 v[42:45], v61 offset0:50 offset1:101
	ds_read2_b64 v[46:49], v61 offset0:152 offset1:203
	;; [unrolled: 1-line block ×3, first 2 shown]
	v_add3_u32 v62, 0, v54, v55
	global_load_dwordx4 v[54:57], v56, s[4:5]
	s_mov_b32 s30, 0xbf7e222b
	s_mov_b32 s31, 0x3df6dbef
	s_mov_b32 s0, s31
	s_mov_b32 s1, s30
	s_mov_b32 s18, 0xbf6f5d39
	s_mov_b32 s19, 0xbeb58ec6
	s_mov_b32 s12, s19
	s_mov_b32 s13, s18
	s_mov_b32 s24, 0xbf29c268
	s_mov_b32 s25, 0xbf3f9e67
	s_mov_b32 s6, s25
	s_mov_b32 s7, s24
	s_mov_b32 s22, 0xbe750f2a
	s_mov_b32 s23, 0xbf788fa5
	s_mov_b32 s8, s23
	s_mov_b32 s9, s22
	s_mov_b32 s34, 0xbeedf032
	s_mov_b32 s38, 0xbf52af12
	s_mov_b32 s35, 0x3f62ad3f
	s_mov_b32 s14, 0x3f116cb1
	s_mov_b32 s20, s35
	s_mov_b32 s21, s34
	s_mov_b32 s40, s19
	s_mov_b32 s48, 0x3f29c268
	s_mov_b32 s49, s25
	s_mov_b32 s42, 0x3f7e222b
	s_mov_b32 s43, s31
	s_mov_b32 s26, s31
	s_mov_b32 s27, s42
	s_mov_b32 s50, s31
	s_mov_b32 s44, 0x3eedf032
	s_mov_b32 s45, s35
	s_mov_b32 s46, 0x3f6f5d39
	s_mov_b32 s47, s19
	s_mov_b32 s28, s35
	s_mov_b32 s29, s44
	s_waitcnt lgkmcnt(0)
	; wave barrier
	s_waitcnt lgkmcnt(0)
	s_mov_b32 s36, s19
	s_mov_b32 s37, s46
	s_mov_b32 s52, 0x3e750f2a
	s_mov_b32 s53, s23
	s_mov_b32 s54, 0x3f52af12
	s_mov_b32 s55, s14
	s_waitcnt vmcnt(5)
	v_mul_f32_e32 v64, v9, v37
	v_mul_f32_e32 v9, v9, v36
	v_mov_b32_e32 v58, v11
	v_mov_b32_e32 v59, v10
	v_pk_mul_f32 v[10:11], v[10:11], v[38:39] op_sel_hi:[1,0]
	s_waitcnt vmcnt(4)
	v_pk_mul_f32 v[66:67], v[40:41], v[12:13] op_sel:[0,1]
	v_mov_b32_e32 v68, v15
	s_waitcnt vmcnt(3)
	v_pk_mul_f32 v[70:71], v[44:45], v[16:17] op_sel:[0,1]
	v_mov_b32_e32 v72, v19
	;; [unrolled: 3-line block ×4, first 2 shown]
	v_fmac_f32_e32 v64, v8, v36
	v_fma_f32 v36, v8, v37, -v9
	v_pk_fma_f32 v[82:83], v[58:59], v[38:39], v[10:11] op_sel:[0,1,0]
	v_pk_fma_f32 v[38:39], v[58:59], v[38:39], v[10:11] op_sel:[0,1,0] neg_lo:[0,0,1] neg_hi:[0,0,1]
	v_pk_fma_f32 v[58:59], v[40:41], v[12:13], v[66:67] op_sel:[0,0,1] op_sel_hi:[1,0,0]
	v_pk_fma_f32 v[40:41], v[40:41], v[12:13], v[66:67] op_sel:[0,0,1] op_sel_hi:[1,0,0] neg_lo:[0,0,1] neg_hi:[0,0,1]
	v_pk_mul_f32 v[8:9], v[42:43], v[68:69] op_sel_hi:[1,0]
	v_pk_fma_f32 v[66:67], v[44:45], v[16:17], v[70:71] op_sel:[0,0,1] op_sel_hi:[1,0,0]
	v_pk_fma_f32 v[16:17], v[44:45], v[16:17], v[70:71] op_sel:[0,0,1] op_sel_hi:[1,0,0] neg_lo:[0,0,1] neg_hi:[0,0,1]
	v_pk_mul_f32 v[10:11], v[46:47], v[72:73] op_sel_hi:[1,0]
	;; [unrolled: 3-line block ×4, first 2 shown]
	v_pk_fma_f32 v[72:73], v[42:43], v[14:15], v[8:9] op_sel:[0,0,1] op_sel_hi:[1,0,0]
	v_pk_fma_f32 v[42:43], v[42:43], v[14:15], v[8:9] op_sel:[0,0,1] op_sel_hi:[1,0,0] neg_lo:[0,0,1] neg_hi:[0,0,1]
	v_pk_fma_f32 v[14:15], v[46:47], v[18:19], v[10:11] op_sel:[0,0,1] op_sel_hi:[1,0,0]
	v_pk_fma_f32 v[18:19], v[46:47], v[18:19], v[10:11] op_sel:[0,0,1] op_sel_hi:[1,0,0] neg_lo:[0,0,1] neg_hi:[0,0,1]
	v_pk_fma_f32 v[10:11], v[50:51], v[22:23], v[44:45] op_sel:[0,0,1] op_sel_hi:[1,0,0]
	v_pk_fma_f32 v[22:23], v[50:51], v[22:23], v[44:45] op_sel:[0,0,1] op_sel_hi:[1,0,0] neg_lo:[0,0,1] neg_hi:[0,0,1]
	v_pk_fma_f32 v[44:45], v[0:1], v[26:27], v[52:53] op_sel:[0,0,1] op_sel_hi:[1,1,0]
	v_pk_fma_f32 v[0:1], v[0:1], v[26:27], v[52:53] op_sel:[0,0,1] op_sel_hi:[1,0,0] neg_lo:[0,0,1] neg_hi:[0,0,1]
	v_mov_b32_e32 v65, v36
	v_mov_b32_e32 v45, v1
	v_pk_add_f32 v[8:9], v[64:65], v[10:11]
	v_pk_add_f32 v[0:1], v[64:65], v[10:11] neg_lo:[0,1] neg_hi:[0,1]
	v_mov_b32_e32 v78, v10
	v_mov_b32_e32 v9, v0
	;; [unrolled: 1-line block ×3, first 2 shown]
	v_pk_add_f32 v[10:11], v[36:37], v[22:23] op_sel:[0,1] neg_lo:[0,1] neg_hi:[0,1]
	v_pk_add_f32 v[22:23], v[36:37], v[22:23] op_sel_hi:[0,1]
	v_pk_mul_f32 v[0:1], v[8:9], s[0:1]
	v_mov_b32_e32 v76, v12
	v_mov_b32_e32 v22, v10
	v_pk_fma_f32 v[80:81], v[10:11], s[30:31], v[0:1] neg_lo:[1,0,0] neg_hi:[1,0,0]
	v_pk_add_f32 v[10:11], v[82:83], v[12:13]
	v_pk_add_f32 v[12:13], v[82:83], v[12:13] neg_lo:[0,1] neg_hi:[0,1]
	v_mov_b32_e32 v77, v21
	v_mov_b32_e32 v11, v12
	;; [unrolled: 1-line block ×3, first 2 shown]
	v_pk_add_f32 v[12:13], v[38:39], v[20:21] neg_lo:[0,1] neg_hi:[0,1]
	v_pk_add_f32 v[24:25], v[38:39], v[20:21]
	v_pk_mul_f32 v[20:21], v[10:11], s[12:13]
	v_mov_b32_e32 v69, v39
	v_mov_b32_e32 v50, v14
	;; [unrolled: 1-line block ×3, first 2 shown]
	v_pk_fma_f32 v[38:39], v[12:13], s[18:19], v[20:21] op_sel:[1,0,0] neg_lo:[1,0,0] neg_hi:[1,0,0]
	v_pk_add_f32 v[12:13], v[58:59], v[14:15]
	v_pk_add_f32 v[14:15], v[58:59], v[14:15] neg_lo:[0,1] neg_hi:[0,1]
	v_mov_b32_e32 v51, v19
	v_mov_b32_e32 v13, v14
	v_pk_add_f32 v[14:15], v[40:41], v[18:19] neg_lo:[0,1] neg_hi:[0,1]
	v_pk_add_f32 v[36:37], v[40:41], v[18:19]
	v_pk_mul_f32 v[18:19], v[12:13], s[6:7]
	v_mov_b32_e32 v71, v41
	v_pk_fma_f32 v[84:85], v[22:23], s[30:31], v[0:1]
	v_mov_b32_e32 v36, v15
	v_pk_fma_f32 v[86:87], v[14:15], s[24:25], v[18:19] op_sel:[1,0,0] neg_lo:[1,0,0] neg_hi:[1,0,0]
	v_pk_add_f32 v[14:15], v[72:73], v[66:67]
	v_pk_add_f32 v[40:41], v[72:73], v[66:67] neg_lo:[0,1] neg_hi:[0,1]
	v_pk_fma_f32 v[0:1], v[22:23], s[30:31], v[0:1] neg_lo:[0,0,1] neg_hi:[0,0,1]
	v_mov_b32_e32 v68, v82
	v_mov_b32_e32 v81, v85
	v_pk_fma_f32 v[82:83], v[24:25], s[18:19], v[20:21]
	v_mov_b32_e32 v15, v40
	v_pk_add_f32 v[40:41], v[42:43], v[16:17] neg_lo:[0,1] neg_hi:[0,1]
	v_pk_add_f32 v[46:47], v[42:43], v[16:17]
	v_mov_b32_e32 v85, v1
	v_pk_fma_f32 v[0:1], v[24:25], s[18:19], v[20:21] neg_lo:[0,0,1] neg_hi:[0,0,1]
	v_mov_b32_e32 v75, v17
	v_mov_b32_e32 v39, v83
	v_pk_fma_f32 v[88:89], v[36:37], s[24:25], v[18:19]
	v_mov_b32_e32 v46, v41
	v_pk_mul_f32 v[16:17], v[14:15], s[8:9]
	v_mov_b32_e32 v83, v1
	v_pk_fma_f32 v[0:1], v[36:37], s[24:25], v[18:19] neg_lo:[0,0,1] neg_hi:[0,0,1]
	v_mov_b32_e32 v87, v89
	v_mov_b32_e32 v89, v1
	v_pk_fma_f32 v[0:1], v[46:47], s[22:23], v[16:17] neg_lo:[0,0,1] neg_hi:[0,0,1]
	v_mov_b32_e32 v74, v66
	v_mov_b32_e32 v26, v72
	v_pk_fma_f32 v[66:67], v[40:41], s[22:23], v[16:17] op_sel:[1,0,0] neg_lo:[1,0,0] neg_hi:[1,0,0]
	v_pk_fma_f32 v[72:73], v[46:47], s[22:23], v[16:17]
	v_mov_b32_e32 v0, v7
	s_waitcnt vmcnt(0)
	v_pk_mul_f32 v[16:17], v[54:55], v[6:7] op_sel_hi:[1,0]
	v_mov_b32_e32 v67, v73
	v_mov_b32_e32 v73, v1
	v_pk_fma_f32 v[0:1], v[54:55], v[0:1], v[16:17] op_sel:[1,0,0] op_sel_hi:[0,1,1]
	v_pk_fma_f32 v[6:7], v[54:55], v[6:7], v[16:17] op_sel:[1,1,0] op_sel_hi:[0,1,1] neg_lo:[0,0,1] neg_hi:[0,0,1]
	v_mov_b32_e32 v1, v7
	v_pk_mul_f32 v[6:7], v[56:57], v[34:35] op_sel:[0,1]
	v_mov_b32_e32 v70, v58
	v_pk_fma_f32 v[40:41], v[56:57], v[34:35], v[6:7] op_sel:[0,0,1] op_sel_hi:[1,1,0]
	v_pk_fma_f32 v[6:7], v[56:57], v[34:35], v[6:7] op_sel:[0,0,1] op_sel_hi:[1,0,0] neg_lo:[1,0,0] neg_hi:[1,0,0]
	v_pk_add_f32 v[34:35], v[0:1], v[4:5]
	v_mov_b32_e32 v41, v7
	v_pk_add_f32 v[34:35], v[34:35], v[40:41]
	v_mov_b32_e32 v27, v43
	v_pk_add_f32 v[34:35], v[34:35], v[64:65]
	v_pk_add_f32 v[52:53], v[0:1], v[44:45]
	;; [unrolled: 1-line block ×3, first 2 shown]
	v_pk_add_f32 v[54:55], v[0:1], v[44:45] neg_lo:[0,1] neg_hi:[0,1]
	v_pk_add_f32 v[34:35], v[34:35], v[70:71]
	v_pk_mul_f32 v[0:1], v[54:55], s[38:39] op_sel_hi:[1,0]
	v_pk_add_f32 v[26:27], v[34:35], v[26:27]
	v_pk_add_f32 v[56:57], v[40:41], v[48:49]
	;; [unrolled: 1-line block ×3, first 2 shown]
	v_pk_add_f32 v[58:59], v[40:41], v[48:49] neg_lo:[0,1] neg_hi:[0,1]
	v_pk_add_f32 v[26:27], v[26:27], v[50:51]
	v_pk_fma_f32 v[16:17], v[52:53], s[14:15], v[0:1] op_sel:[0,0,1] op_sel_hi:[1,0,0]
	v_pk_add_f32 v[26:27], v[26:27], v[76:77]
	v_pk_fma_f32 v[6:7], v[52:53], s[14:15], v[0:1] op_sel:[0,0,1] op_sel_hi:[1,0,0] neg_lo:[0,0,1] neg_hi:[0,0,1]
	v_pk_add_f32 v[26:27], v[26:27], v[78:79]
	v_mov_b32_e32 v68, v55
	v_pk_add_f32 v[26:27], v[26:27], v[48:49]
	v_mov_b32_e32 v69, v53
	;; [unrolled: 2-line block ×3, first 2 shown]
	v_mov_b32_e32 v27, v54
	v_pk_mul_f32 v[70:71], v[26:27], s[20:21]
	v_mov_b32_e32 v34, v56
	v_mov_b32_e32 v35, v58
	s_mov_b32 s15, s38
	v_pk_fma_f32 v[26:27], v[68:69], s[34:35], v[70:71] neg_lo:[1,0,0] neg_hi:[1,0,0]
	v_pk_fma_f32 v[74:75], v[68:69], s[34:35], v[70:71]
	v_mov_b32_e32 v76, v59
	v_mov_b32_e32 v77, v57
	s_mov_b32 s39, s14
	v_pk_mul_f32 v[78:79], v[34:35], s[14:15]
	v_pk_mul_f32 v[18:19], v[58:59], s[18:19] op_sel_hi:[1,0]
	v_mov_b32_e32 v27, v75
	v_pk_fma_f32 v[34:35], v[76:77], s[38:39], v[78:79] neg_lo:[1,0,0] neg_hi:[1,0,0]
	v_pk_fma_f32 v[90:91], v[76:77], s[38:39], v[78:79]
	v_mov_b32_e32 v0, v16
	v_mov_b32_e32 v1, v7
	v_pk_fma_f32 v[20:21], v[56:57], s[40:41], v[18:19] op_sel:[0,0,1] op_sel_hi:[1,0,0]
	v_pk_fma_f32 v[18:19], v[56:57], s[40:41], v[18:19] op_sel:[0,0,1] op_sel_hi:[1,0,0] neg_lo:[0,0,1] neg_hi:[0,0,1]
	v_pk_add_f32 v[26:27], v[26:27], v[4:5]
	v_mov_b32_e32 v35, v91
	v_mov_b32_e32 v42, v20
	;; [unrolled: 1-line block ×3, first 2 shown]
	v_pk_add_f32 v[0:1], v[0:1], v[4:5]
	v_pk_add_f32 v[26:27], v[34:35], v[26:27]
	v_pk_mul_f32 v[34:35], v[22:23], s[22:23]
	v_pk_fma_f32 v[68:69], v[68:69], s[34:35], v[70:71] neg_lo:[0,0,1] neg_hi:[0,0,1]
	v_pk_add_f32 v[0:1], v[42:43], v[0:1]
	v_pk_add_f32 v[40:41], v[80:81], v[26:27]
	v_pk_fma_f32 v[26:27], v[8:9], s[8:9], v[34:35]
	v_pk_fma_f32 v[42:43], v[8:9], s[8:9], v[34:35] neg_lo:[1,0,0] neg_hi:[1,0,0]
	v_mov_b32_e32 v75, v69
	v_pk_fma_f32 v[70:71], v[76:77], s[38:39], v[78:79] neg_lo:[0,0,1] neg_hi:[0,0,1]
	v_mov_b32_e32 v42, v26
	v_pk_add_f32 v[68:69], v[74:75], v[4:5]
	v_mov_b32_e32 v91, v71
	v_pk_add_f32 v[0:1], v[42:43], v[0:1]
	v_pk_add_f32 v[42:43], v[38:39], v[40:41]
	v_pk_mul_f32 v[38:39], v[24:25], s[48:49]
	s_mov_b32 s20, s25
	s_mov_b32 s21, s48
	v_pk_add_f32 v[68:69], v[90:91], v[68:69]
	v_pk_fma_f32 v[40:41], v[10:11], s[20:21], v[38:39]
	v_pk_fma_f32 v[44:45], v[10:11], s[20:21], v[38:39] neg_lo:[1,0,0] neg_hi:[1,0,0]
	v_pk_add_f32 v[68:69], v[84:85], v[68:69]
	v_mov_b32_e32 v44, v40
	v_pk_add_f32 v[48:49], v[86:87], v[42:43]
	v_pk_mul_f32 v[42:43], v[36:37], s[42:43]
	v_pk_add_f32 v[68:69], v[82:83], v[68:69]
	v_pk_add_f32 v[0:1], v[44:45], v[0:1]
	v_pk_fma_f32 v[44:45], v[12:13], s[26:27], v[42:43]
	v_pk_fma_f32 v[50:51], v[12:13], s[26:27], v[42:43] neg_lo:[1,0,0] neg_hi:[1,0,0]
	v_pk_add_f32 v[68:69], v[88:89], v[68:69]
	v_pk_mul_f32 v[90:91], v[54:55], s[30:31] op_sel_hi:[1,0]
	v_mov_b32_e32 v50, v44
	v_pk_add_f32 v[68:69], v[72:73], v[68:69]
	v_pk_fma_f32 v[92:93], v[52:53], s[50:51], v[90:91] op_sel:[0,0,1] op_sel_hi:[1,0,0]
	v_pk_fma_f32 v[90:91], v[52:53], s[50:51], v[90:91] op_sel:[0,0,1] op_sel_hi:[1,0,0] neg_lo:[0,0,1] neg_hi:[0,0,1]
	s_mov_b32 s34, s23
	v_pk_mul_f32 v[96:97], v[58:59], s[22:23] op_sel_hi:[1,0]
	v_pk_add_f32 v[80:81], v[50:51], v[0:1]
	v_pk_add_f32 v[0:1], v[66:67], v[48:49]
	v_pk_mul_f32 v[48:49], v[46:47], s[44:45]
	ds_write2_b64 v62, v[64:65], v[68:69] offset1:17
	v_pk_mul_f32 v[64:65], v[22:23], s[46:47]
	v_mov_b32_e32 v94, v92
	v_mov_b32_e32 v95, v91
	v_pk_fma_f32 v[98:99], v[56:57], s[34:35], v[96:97] op_sel:[0,0,1] op_sel_hi:[1,0,0]
	v_pk_fma_f32 v[96:97], v[56:57], s[34:35], v[96:97] op_sel:[0,0,1] op_sel_hi:[1,0,0] neg_lo:[0,0,1] neg_hi:[0,0,1]
	v_pk_fma_f32 v[50:51], v[14:15], s[28:29], v[48:49]
	v_pk_fma_f32 v[66:67], v[14:15], s[28:29], v[48:49] neg_lo:[1,0,0] neg_hi:[1,0,0]
	v_pk_fma_f32 v[68:69], v[8:9], s[36:37], v[64:65]
	v_pk_fma_f32 v[70:71], v[8:9], s[36:37], v[64:65] neg_lo:[1,0,0] neg_hi:[1,0,0]
	v_pk_mul_f32 v[72:73], v[24:25], s[44:45]
	v_mov_b32_e32 v100, v98
	v_mov_b32_e32 v101, v97
	v_pk_add_f32 v[94:95], v[94:95], v[4:5]
	v_mov_b32_e32 v66, v50
	v_mov_b32_e32 v70, v68
	v_pk_fma_f32 v[74:75], v[10:11], s[28:29], v[72:73]
	v_pk_fma_f32 v[76:77], v[10:11], s[28:29], v[72:73] neg_lo:[1,0,0] neg_hi:[1,0,0]
	v_pk_mul_f32 v[78:79], v[36:37], s[38:39]
	v_pk_add_f32 v[94:95], v[100:101], v[94:95]
	v_pk_add_f32 v[66:67], v[66:67], v[80:81]
	v_mov_b32_e32 v76, v74
	v_pk_fma_f32 v[80:81], v[12:13], s[14:15], v[78:79]
	v_pk_fma_f32 v[82:83], v[12:13], s[14:15], v[78:79] neg_lo:[1,0,0] neg_hi:[1,0,0]
	v_pk_mul_f32 v[84:85], v[46:47], s[24:25]
	v_pk_add_f32 v[70:71], v[70:71], v[94:95]
	v_mov_b32_e32 v82, v80
	v_pk_fma_f32 v[86:87], v[14:15], s[6:7], v[84:85]
	v_pk_fma_f32 v[88:89], v[14:15], s[6:7], v[84:85] neg_lo:[1,0,0] neg_hi:[1,0,0]
	v_pk_add_f32 v[70:71], v[76:77], v[70:71]
	v_mov_b32_e32 v88, v86
	v_pk_add_f32 v[70:71], v[82:83], v[70:71]
	v_pk_mul_f32 v[112:113], v[54:55], s[18:19] op_sel_hi:[1,0]
	v_pk_add_f32 v[70:71], v[88:89], v[70:71]
	v_pk_fma_f32 v[114:115], v[52:53], s[40:41], v[112:113] op_sel:[0,0,1] op_sel_hi:[1,0,0]
	v_pk_fma_f32 v[112:113], v[52:53], s[40:41], v[112:113] op_sel:[0,0,1] op_sel_hi:[1,0,0] neg_lo:[0,0,1] neg_hi:[0,0,1]
	s_mov_b32 s40, s25
	v_pk_mul_f32 v[118:119], v[58:59], s[48:49] op_sel_hi:[1,0]
	ds_write2_b64 v62, v[66:67], v[70:71] offset0:34 offset1:51
	v_pk_mul_f32 v[66:67], v[22:23], s[44:45]
	v_mov_b32_e32 v116, v114
	v_mov_b32_e32 v117, v113
	v_pk_fma_f32 v[120:121], v[56:57], s[40:41], v[118:119] op_sel:[0,0,1] op_sel_hi:[1,0,0]
	v_pk_fma_f32 v[118:119], v[56:57], s[40:41], v[118:119] op_sel:[0,0,1] op_sel_hi:[1,0,0] neg_lo:[0,0,1] neg_hi:[0,0,1]
	v_pk_fma_f32 v[70:71], v[8:9], s[28:29], v[66:67]
	v_pk_fma_f32 v[76:77], v[8:9], s[28:29], v[66:67] neg_lo:[1,0,0] neg_hi:[1,0,0]
	v_pk_mul_f32 v[82:83], v[24:25], s[30:31]
	v_mov_b32_e32 v122, v120
	v_mov_b32_e32 v123, v119
	v_pk_add_f32 v[116:117], v[116:117], v[4:5]
	v_mov_b32_e32 v76, v70
	v_pk_fma_f32 v[88:89], v[10:11], s[0:1], v[82:83]
	v_pk_fma_f32 v[94:95], v[10:11], s[0:1], v[82:83] neg_lo:[1,0,0] neg_hi:[1,0,0]
	v_pk_mul_f32 v[100:101], v[36:37], s[52:53]
	s_mov_b32 s30, s23
	s_mov_b32 s31, s52
	v_pk_add_f32 v[116:117], v[122:123], v[116:117]
	v_mov_b32_e32 v94, v88
	v_pk_fma_f32 v[102:103], v[12:13], s[30:31], v[100:101]
	v_pk_fma_f32 v[104:105], v[12:13], s[30:31], v[100:101] neg_lo:[1,0,0] neg_hi:[1,0,0]
	v_pk_mul_f32 v[106:107], v[46:47], s[54:55]
	s_mov_b32 s46, s14
	s_mov_b32 s47, s54
	v_pk_add_f32 v[76:77], v[76:77], v[116:117]
	v_pk_mul_f32 v[138:139], v[54:55], s[24:25] op_sel_hi:[1,0]
	v_mov_b32_e32 v104, v102
	v_pk_fma_f32 v[108:109], v[14:15], s[46:47], v[106:107]
	v_pk_fma_f32 v[110:111], v[14:15], s[46:47], v[106:107] neg_lo:[1,0,0] neg_hi:[1,0,0]
	v_pk_add_f32 v[76:77], v[94:95], v[76:77]
	v_pk_fma_f32 v[140:141], v[52:53], s[40:41], v[138:139] op_sel:[0,0,1] op_sel_hi:[1,0,0]
	v_pk_fma_f32 v[138:139], v[52:53], s[40:41], v[138:139] op_sel:[0,0,1] op_sel_hi:[1,0,0] neg_lo:[0,0,1] neg_hi:[0,0,1]
	v_pk_mul_f32 v[144:145], v[58:59], s[42:43] op_sel_hi:[1,0]
	v_mov_b32_e32 v110, v108
	v_pk_add_f32 v[76:77], v[104:105], v[76:77]
	v_pk_mul_f32 v[94:95], v[22:23], s[38:39]
	v_mov_b32_e32 v142, v140
	v_mov_b32_e32 v143, v139
	v_pk_fma_f32 v[146:147], v[56:57], s[50:51], v[144:145] op_sel:[0,0,1] op_sel_hi:[1,0,0]
	v_pk_fma_f32 v[144:145], v[56:57], s[50:51], v[144:145] op_sel:[0,0,1] op_sel_hi:[1,0,0] neg_lo:[0,0,1] neg_hi:[0,0,1]
	v_pk_add_f32 v[76:77], v[110:111], v[76:77]
	v_pk_fma_f32 v[104:105], v[8:9], s[14:15], v[94:95]
	v_pk_fma_f32 v[110:111], v[8:9], s[14:15], v[94:95] neg_lo:[1,0,0] neg_hi:[1,0,0]
	v_pk_mul_f32 v[116:117], v[24:25], s[52:53]
	v_mov_b32_e32 v148, v146
	v_mov_b32_e32 v149, v145
	v_pk_add_f32 v[142:143], v[142:143], v[4:5]
	v_mov_b32_e32 v110, v104
	v_pk_fma_f32 v[122:123], v[10:11], s[30:31], v[116:117]
	v_pk_fma_f32 v[124:125], v[10:11], s[30:31], v[116:117] neg_lo:[1,0,0] neg_hi:[1,0,0]
	v_pk_mul_f32 v[126:127], v[36:37], s[44:45]
	v_pk_add_f32 v[142:143], v[148:149], v[142:143]
	v_mov_b32_e32 v124, v122
	v_pk_fma_f32 v[128:129], v[12:13], s[28:29], v[126:127]
	v_pk_fma_f32 v[130:131], v[12:13], s[28:29], v[126:127] neg_lo:[1,0,0] neg_hi:[1,0,0]
	v_pk_mul_f32 v[132:133], v[46:47], s[18:19]
	v_pk_add_f32 v[110:111], v[110:111], v[142:143]
	v_mov_b32_e32 v130, v128
	v_pk_fma_f32 v[134:135], v[14:15], s[12:13], v[132:133]
	v_pk_fma_f32 v[136:137], v[14:15], s[12:13], v[132:133] neg_lo:[1,0,0] neg_hi:[1,0,0]
	v_pk_add_f32 v[110:111], v[124:125], v[110:111]
	v_pk_mul_f32 v[54:55], v[54:55], s[22:23] op_sel_hi:[1,0]
	v_mov_b32_e32 v136, v134
	v_pk_add_f32 v[110:111], v[130:131], v[110:111]
	v_pk_mul_f32 v[36:37], v[36:37], s[18:19]
	v_pk_fma_f32 v[152:153], v[52:53], s[34:35], v[54:55] op_sel:[0,0,1] op_sel_hi:[1,0,0]
	v_pk_fma_f32 v[52:53], v[52:53], s[34:35], v[54:55] op_sel:[0,0,1] op_sel_hi:[1,0,0] neg_lo:[0,0,1] neg_hi:[0,0,1]
	s_mov_b32 s18, s35
	v_pk_mul_f32 v[58:59], v[58:59], s[44:45] op_sel_hi:[1,0]
	v_pk_add_f32 v[110:111], v[136:137], v[110:111]
	v_pk_mul_f32 v[22:23], v[22:23], s[24:25]
	v_mov_b32_e32 v54, v152
	v_mov_b32_e32 v55, v53
	v_pk_fma_f32 v[154:155], v[56:57], s[18:19], v[58:59] op_sel:[0,0,1] op_sel_hi:[1,0,0]
	v_pk_fma_f32 v[56:57], v[56:57], s[18:19], v[58:59] op_sel:[0,0,1] op_sel_hi:[1,0,0] neg_lo:[0,0,1] neg_hi:[0,0,1]
	v_mov_b32_e32 v53, v153
	ds_write2_b64 v62, v[76:77], v[110:111] offset0:68 offset1:85
	v_pk_fma_f32 v[76:77], v[8:9], s[6:7], v[22:23]
	v_pk_fma_f32 v[110:111], v[8:9], s[6:7], v[22:23] neg_lo:[1,0,0] neg_hi:[1,0,0]
	v_pk_mul_f32 v[24:25], v[24:25], s[54:55]
	v_mov_b32_e32 v58, v154
	v_mov_b32_e32 v59, v57
	v_pk_add_f32 v[54:55], v[54:55], v[4:5]
	v_pk_fma_f32 v[22:23], v[8:9], s[6:7], v[22:23] neg_lo:[0,0,1] neg_hi:[0,0,1]
	v_mov_b32_e32 v57, v155
	v_pk_add_f32 v[52:53], v[52:53], v[4:5]
	v_mov_b32_e32 v110, v76
	v_pk_fma_f32 v[124:125], v[10:11], s[46:47], v[24:25]
	v_pk_fma_f32 v[130:131], v[10:11], s[46:47], v[24:25] neg_lo:[1,0,0] neg_hi:[1,0,0]
	v_pk_add_f32 v[54:55], v[58:59], v[54:55]
	v_mov_b32_e32 v23, v77
	v_pk_fma_f32 v[24:25], v[10:11], s[46:47], v[24:25] neg_lo:[0,0,1] neg_hi:[0,0,1]
	v_pk_add_f32 v[52:53], v[56:57], v[52:53]
	v_mov_b32_e32 v130, v124
	v_pk_fma_f32 v[136:137], v[12:13], s[12:13], v[36:37]
	v_pk_fma_f32 v[142:143], v[12:13], s[12:13], v[36:37] neg_lo:[1,0,0] neg_hi:[1,0,0]
	v_pk_mul_f32 v[46:47], v[46:47], s[42:43]
	v_pk_add_f32 v[54:55], v[110:111], v[54:55]
	v_mov_b32_e32 v25, v125
	v_pk_fma_f32 v[36:37], v[12:13], s[12:13], v[36:37] neg_lo:[0,0,1] neg_hi:[0,0,1]
	v_pk_add_f32 v[22:23], v[22:23], v[52:53]
	v_mov_b32_e32 v142, v136
	v_pk_fma_f32 v[148:149], v[14:15], s[26:27], v[46:47]
	v_pk_fma_f32 v[150:151], v[14:15], s[26:27], v[46:47] neg_lo:[1,0,0] neg_hi:[1,0,0]
	v_pk_add_f32 v[54:55], v[130:131], v[54:55]
	v_mov_b32_e32 v37, v137
	v_pk_fma_f32 v[46:47], v[14:15], s[26:27], v[46:47] neg_lo:[0,0,1] neg_hi:[0,0,1]
	v_pk_add_f32 v[22:23], v[24:25], v[22:23]
	v_mov_b32_e32 v150, v148
	v_pk_add_f32 v[54:55], v[142:143], v[54:55]
	v_mov_b32_e32 v47, v149
	v_pk_add_f32 v[22:23], v[36:37], v[22:23]
	v_pk_add_f32 v[54:55], v[150:151], v[54:55]
	;; [unrolled: 1-line block ×3, first 2 shown]
	v_mov_b32_e32 v139, v141
	ds_write2_b64 v62, v[54:55], v[22:23] offset0:102 offset1:119
	v_pk_fma_f32 v[22:23], v[8:9], s[14:15], v[94:95] neg_lo:[0,0,1] neg_hi:[0,0,1]
	v_mov_b32_e32 v145, v147
	v_pk_add_f32 v[52:53], v[138:139], v[4:5]
	v_mov_b32_e32 v23, v105
	v_pk_fma_f32 v[24:25], v[10:11], s[30:31], v[116:117] neg_lo:[0,0,1] neg_hi:[0,0,1]
	v_pk_add_f32 v[52:53], v[144:145], v[52:53]
	v_mov_b32_e32 v25, v123
	v_pk_fma_f32 v[36:37], v[12:13], s[28:29], v[126:127] neg_lo:[0,0,1] neg_hi:[0,0,1]
	v_pk_add_f32 v[22:23], v[22:23], v[52:53]
	v_mov_b32_e32 v113, v115
	v_mov_b32_e32 v37, v129
	v_pk_fma_f32 v[46:47], v[14:15], s[12:13], v[132:133] neg_lo:[0,0,1] neg_hi:[0,0,1]
	v_pk_add_f32 v[22:23], v[24:25], v[22:23]
	v_pk_fma_f32 v[24:25], v[8:9], s[28:29], v[66:67] neg_lo:[0,0,1] neg_hi:[0,0,1]
	v_mov_b32_e32 v119, v121
	v_pk_add_f32 v[54:55], v[112:113], v[4:5]
	v_mov_b32_e32 v47, v135
	v_pk_add_f32 v[22:23], v[36:37], v[22:23]
	v_mov_b32_e32 v25, v71
	v_pk_fma_f32 v[36:37], v[10:11], s[0:1], v[82:83] neg_lo:[0,0,1] neg_hi:[0,0,1]
	v_pk_add_f32 v[54:55], v[118:119], v[54:55]
	v_pk_add_f32 v[22:23], v[46:47], v[22:23]
	v_mov_b32_e32 v37, v89
	v_pk_fma_f32 v[46:47], v[12:13], s[30:31], v[100:101] neg_lo:[0,0,1] neg_hi:[0,0,1]
	v_pk_add_f32 v[24:25], v[24:25], v[54:55]
	v_mov_b32_e32 v47, v103
	v_pk_fma_f32 v[52:53], v[14:15], s[46:47], v[106:107] neg_lo:[0,0,1] neg_hi:[0,0,1]
	v_pk_add_f32 v[24:25], v[36:37], v[24:25]
	v_mov_b32_e32 v53, v109
	v_pk_add_f32 v[24:25], v[46:47], v[24:25]
	v_mov_b32_e32 v91, v93
	v_mov_b32_e32 v7, v17
	v_pk_add_f32 v[24:25], v[52:53], v[24:25]
	v_pk_add_f32 v[52:53], v[90:91], v[4:5]
	v_mov_b32_e32 v19, v21
	v_pk_add_f32 v[4:5], v[6:7], v[4:5]
	v_pk_fma_f32 v[6:7], v[8:9], s[8:9], v[34:35] neg_lo:[0,0,1] neg_hi:[0,0,1]
	v_pk_add_f32 v[4:5], v[18:19], v[4:5]
	v_mov_b32_e32 v7, v27
	v_pk_add_f32 v[4:5], v[6:7], v[4:5]
	v_pk_fma_f32 v[6:7], v[10:11], s[20:21], v[38:39] neg_lo:[0,0,1] neg_hi:[0,0,1]
	ds_write2_b64 v62, v[22:23], v[24:25] offset0:136 offset1:153
	v_pk_fma_f32 v[22:23], v[8:9], s[36:37], v[64:65] neg_lo:[0,0,1] neg_hi:[0,0,1]
	v_mov_b32_e32 v97, v99
	v_mov_b32_e32 v7, v41
	;; [unrolled: 1-line block ×3, first 2 shown]
	v_pk_fma_f32 v[24:25], v[10:11], s[28:29], v[72:73] neg_lo:[0,0,1] neg_hi:[0,0,1]
	v_pk_add_f32 v[52:53], v[96:97], v[52:53]
	v_pk_add_f32 v[4:5], v[6:7], v[4:5]
	v_pk_fma_f32 v[6:7], v[12:13], s[26:27], v[42:43] neg_lo:[0,0,1] neg_hi:[0,0,1]
	v_mov_b32_e32 v25, v75
	v_pk_fma_f32 v[36:37], v[12:13], s[14:15], v[78:79] neg_lo:[0,0,1] neg_hi:[0,0,1]
	v_pk_add_f32 v[22:23], v[22:23], v[52:53]
	v_mov_b32_e32 v7, v45
	v_mov_b32_e32 v37, v81
	v_pk_fma_f32 v[46:47], v[14:15], s[6:7], v[84:85] neg_lo:[0,0,1] neg_hi:[0,0,1]
	v_pk_add_f32 v[22:23], v[24:25], v[22:23]
	v_pk_add_f32 v[4:5], v[6:7], v[4:5]
	v_pk_fma_f32 v[6:7], v[14:15], s[28:29], v[48:49] neg_lo:[0,0,1] neg_hi:[0,0,1]
	v_mov_b32_e32 v47, v87
	v_pk_add_f32 v[22:23], v[36:37], v[22:23]
	v_mov_b32_e32 v7, v51
	v_pk_add_f32 v[22:23], v[46:47], v[22:23]
	v_pk_add_f32 v[4:5], v[6:7], v[4:5]
	ds_write2_b64 v62, v[22:23], v[4:5] offset0:170 offset1:187
	ds_write_b64 v62, v[0:1] offset:1632
	v_add_u32_e32 v4, 0x400, v60
	s_waitcnt lgkmcnt(0)
	; wave barrier
	s_waitcnt lgkmcnt(0)
	ds_read2_b64 v[16:19], v60 offset1:51
	ds_read2_b64 v[24:27], v4 offset0:93 offset1:144
	ds_read2_b64 v[20:23], v61 offset0:186 offset1:237
	;; [unrolled: 1-line block ×4, first 2 shown]
	v_add_u32_e32 v8, 0x1000, v60
	ds_read2_b64 v[8:11], v8 offset0:32 offset1:83
	v_cmp_gt_u32_e64 s[0:1], 17, v170
	s_and_saveexec_b64 s[6:7], s[0:1]
	s_cbranch_execz .LBB0_15
; %bb.14:
	v_add_u32_e32 v0, 0x600, v60
	ds_read2_b64 v[0:3], v0 offset0:12 offset1:233
	ds_read_b64 v[32:33], v60 offset:5168
.LBB0_15:
	s_or_b64 exec, exec, s[6:7]
	s_and_saveexec_b64 s[6:7], vcc
	s_cbranch_execz .LBB0_18
; %bb.16:
	v_add_u32_e32 v71, 0x99, v170
	v_add_u32_e32 v70, 0x66, v170
	v_lshlrev_b32_e32 v34, 1, v71
	v_mov_b32_e32 v35, 0
	v_add_u32_e32 v49, 51, v170
	v_lshl_add_u64 v[52:53], v[34:35], 3, s[4:5]
	v_lshlrev_b32_e32 v34, 1, v70
	v_lshl_add_u64 v[54:55], v[34:35], 3, s[4:5]
	v_lshlrev_b32_e32 v34, 1, v49
	;; [unrolled: 2-line block ×3, first 2 shown]
	v_lshl_add_u64 v[46:47], v[34:35], 3, s[4:5]
	global_load_dwordx4 v[36:39], v[46:47], off offset:1632
	global_load_dwordx4 v[40:43], v[44:45], off offset:1632
	v_mul_lo_u32 v34, s3, v30
	v_mul_lo_u32 v46, s2, v31
	v_mad_u64_u32 v[30:31], s[2:3], s2, v30, 0
	v_mad_u64_u32 v[44:45], s[2:3], s16, v170, 0
	v_add_u32_e32 v51, 0xdd, v170
	v_add_u32_e32 v67, 0x1ba, v170
	;; [unrolled: 1-line block ×4, first 2 shown]
	v_add3_u32 v31, v31, v46, v34
	v_mov_b32_e32 v34, v45
	v_mad_u64_u32 v[56:57], s[6:7], s16, v51, 0
	v_mad_u64_u32 v[58:59], s[6:7], s16, v67, 0
	;; [unrolled: 1-line block ×6, first 2 shown]
	v_lshl_add_u64 v[30:31], v[30:31], 3, s[10:11]
	v_mov_b32_e32 v34, v57
	v_mov_b32_e32 v48, v59
	v_mov_b32_e32 v50, v61
	v_mov_b32_e32 v66, v63
	v_mov_b32_e32 v68, v65
	v_mov_b32_e32 v45, v46
	v_lshl_add_u64 v[28:29], v[28:29], 3, v[30:31]
	v_mad_u64_u32 v[30:31], s[6:7], s17, v51, v[34:35]
	v_mad_u64_u32 v[46:47], s[6:7], s17, v67, v[48:49]
	;; [unrolled: 1-line block ×5, first 2 shown]
	v_lshl_add_u64 v[68:69], v[44:45], 3, v[28:29]
	v_mov_b32_e32 v59, v46
	v_mov_b32_e32 v61, v48
	;; [unrolled: 1-line block ×3, first 2 shown]
	global_load_dwordx4 v[44:47], v[52:53], off offset:1632
	global_load_dwordx4 v[48:51], v[54:55], off offset:1632
	v_mov_b32_e32 v57, v30
	v_lshl_add_u64 v[30:31], v[56:57], 3, v[28:29]
	v_lshl_add_u64 v[54:55], v[60:61], 3, v[28:29]
	;; [unrolled: 1-line block ×3, first 2 shown]
	v_mov_b32_e32 v65, v66
	s_movk_i32 s3, 0x1ba
	s_mov_b32 s2, 0x3f5db3d7
	v_lshl_add_u64 v[52:53], v[58:59], 3, v[28:29]
	v_lshl_add_u64 v[58:59], v[64:65], 3, v[28:29]
	s_mov_b32 s8, 0x288b0129
	s_waitcnt vmcnt(3) lgkmcnt(4)
	v_pk_mul_f32 v[60:61], v[36:37], v[24:25] op_sel:[0,1]
	s_waitcnt lgkmcnt(3)
	v_pk_mul_f32 v[62:63], v[38:39], v[20:21] op_sel:[0,1]
	v_pk_fma_f32 v[66:67], v[36:37], v[24:25], v[60:61] op_sel:[0,0,1] op_sel_hi:[1,1,0]
	v_pk_fma_f32 v[24:25], v[36:37], v[24:25], v[60:61] op_sel:[0,0,1] op_sel_hi:[1,0,0] neg_lo:[1,0,0] neg_hi:[1,0,0]
	v_pk_fma_f32 v[36:37], v[38:39], v[20:21], v[62:63] op_sel:[0,0,1] op_sel_hi:[1,1,0]
	v_pk_fma_f32 v[20:21], v[38:39], v[20:21], v[62:63] op_sel:[0,0,1] op_sel_hi:[1,0,0] neg_lo:[1,0,0] neg_hi:[1,0,0]
	v_mov_b32_e32 v67, v25
	v_mov_b32_e32 v37, v21
	v_pk_add_f32 v[20:21], v[66:67], v[36:37]
	v_pk_add_f32 v[24:25], v[66:67], v[36:37] neg_lo:[0,1] neg_hi:[0,1]
	v_pk_add_f32 v[38:39], v[16:17], v[66:67]
	v_pk_fma_f32 v[16:17], v[20:21], 0.5, v[16:17] op_sel_hi:[1,0,1] neg_lo:[1,0,0] neg_hi:[1,0,0]
	v_pk_mul_f32 v[20:21], v[24:25], s[2:3] op_sel_hi:[1,0]
	v_pk_add_f32 v[24:25], v[38:39], v[36:37]
	v_pk_add_f32 v[36:37], v[16:17], v[20:21] op_sel:[0,1] op_sel_hi:[1,0]
	v_pk_add_f32 v[16:17], v[16:17], v[20:21] op_sel:[0,1] op_sel_hi:[1,0] neg_lo:[0,1] neg_hi:[0,1]
	s_waitcnt vmcnt(2)
	v_pk_mul_f32 v[64:65], v[40:41], v[26:27] op_sel:[0,1]
	v_mov_b32_e32 v20, v16
	v_mov_b32_e32 v21, v37
	global_store_dwordx2 v[68:69], v[24:25], off
	v_mov_b32_e32 v37, v17
	global_store_dwordx2 v[30:31], v[20:21], off
	global_store_dwordx2 v[52:53], v[36:37], off
	v_pk_fma_f32 v[16:17], v[40:41], v[26:27], v[64:65] op_sel:[0,0,1] op_sel_hi:[1,1,0]
	v_pk_fma_f32 v[20:21], v[40:41], v[26:27], v[64:65] op_sel:[0,0,1] op_sel_hi:[1,0,0] neg_lo:[1,0,0] neg_hi:[1,0,0]
	s_nop 0
	v_mov_b32_e32 v17, v21
	v_pk_mul_f32 v[20:21], v[42:43], v[22:23] op_sel:[0,1]
	s_nop 0
	v_pk_fma_f32 v[24:25], v[42:43], v[22:23], v[20:21] op_sel:[0,0,1] op_sel_hi:[1,1,0]
	v_pk_fma_f32 v[20:21], v[42:43], v[22:23], v[20:21] op_sel:[0,0,1] op_sel_hi:[1,0,0] neg_lo:[1,0,0] neg_hi:[1,0,0]
	s_nop 0
	v_mov_b32_e32 v25, v21
	v_pk_add_f32 v[20:21], v[16:17], v[24:25]
	v_pk_add_f32 v[22:23], v[16:17], v[24:25] neg_lo:[0,1] neg_hi:[0,1]
	v_pk_fma_f32 v[20:21], v[20:21], 0.5, v[18:19] op_sel_hi:[1,0,1] neg_lo:[1,0,0] neg_hi:[1,0,0]
	v_pk_mul_f32 v[22:23], v[22:23], s[2:3] op_sel_hi:[1,0]
	v_pk_add_f32 v[16:17], v[18:19], v[16:17]
	v_pk_add_f32 v[26:27], v[20:21], v[22:23] op_sel:[0,1] op_sel_hi:[1,0]
	v_pk_add_f32 v[20:21], v[20:21], v[22:23] op_sel:[0,1] op_sel_hi:[1,0] neg_lo:[0,1] neg_hi:[0,1]
	v_pk_add_f32 v[16:17], v[16:17], v[24:25]
	global_store_dwordx2 v[54:55], v[16:17], off
	v_mov_b32_e32 v16, v20
	v_mov_b32_e32 v17, v27
	global_store_dwordx2 v[56:57], v[16:17], off
	v_mul_hi_u32 v16, v70, s8
	v_sub_u32_e32 v17, v70, v16
	v_lshrrev_b32_e32 v17, 1, v17
	v_add_u32_e32 v16, v17, v16
	v_lshrrev_b32_e32 v16, 7, v16
	v_mad_u32_u24 v22, v16, s3, v70
	v_mad_u64_u32 v[16:17], s[6:7], s16, v22, 0
	v_mov_b32_e32 v18, v17
	v_mov_b32_e32 v27, v21
	v_mad_u64_u32 v[18:19], s[6:7], s17, v22, v[18:19]
	v_add_u32_e32 v21, 0xdd, v22
	v_mov_b32_e32 v17, v18
	v_mad_u64_u32 v[18:19], s[6:7], s16, v21, 0
	v_mov_b32_e32 v20, v19
	v_mad_u64_u32 v[20:21], s[6:7], s17, v21, v[20:21]
	v_add_u32_e32 v23, 0x1ba, v22
	v_mov_b32_e32 v19, v20
	v_mad_u64_u32 v[20:21], s[6:7], s16, v23, 0
	v_mov_b32_e32 v22, v21
	v_mad_u64_u32 v[22:23], s[6:7], s17, v23, v[22:23]
	v_mov_b32_e32 v21, v22
	s_waitcnt vmcnt(5) lgkmcnt(1)
	v_pk_mul_f32 v[22:23], v[48:49], v[12:13] op_sel:[0,1]
	global_store_dwordx2 v[58:59], v[26:27], off
	v_pk_fma_f32 v[24:25], v[48:49], v[12:13], v[22:23] op_sel:[0,0,1] op_sel_hi:[1,1,0]
	v_pk_fma_f32 v[12:13], v[48:49], v[12:13], v[22:23] op_sel:[0,0,1] op_sel_hi:[1,0,0] neg_lo:[1,0,0] neg_hi:[1,0,0]
	v_lshl_add_u64 v[16:17], v[16:17], 3, v[28:29]
	v_mov_b32_e32 v25, v13
	s_waitcnt lgkmcnt(0)
	v_pk_mul_f32 v[12:13], v[50:51], v[8:9] op_sel:[0,1]
	v_lshl_add_u64 v[18:19], v[18:19], 3, v[28:29]
	v_pk_fma_f32 v[22:23], v[50:51], v[8:9], v[12:13] op_sel:[0,0,1] op_sel_hi:[1,1,0]
	v_pk_fma_f32 v[8:9], v[50:51], v[8:9], v[12:13] op_sel:[0,0,1] op_sel_hi:[1,0,0] neg_lo:[1,0,0] neg_hi:[1,0,0]
	v_lshl_add_u64 v[20:21], v[20:21], 3, v[28:29]
	v_mov_b32_e32 v23, v9
	v_pk_add_f32 v[8:9], v[24:25], v[22:23]
	v_pk_add_f32 v[12:13], v[24:25], v[22:23] neg_lo:[0,1] neg_hi:[0,1]
	v_pk_fma_f32 v[8:9], v[8:9], 0.5, v[4:5] op_sel_hi:[1,0,1] neg_lo:[1,0,0] neg_hi:[1,0,0]
	v_pk_mul_f32 v[12:13], v[12:13], s[2:3] op_sel_hi:[1,0]
	v_pk_add_f32 v[4:5], v[4:5], v[24:25]
	v_pk_add_f32 v[26:27], v[8:9], v[12:13] op_sel:[0,1] op_sel_hi:[1,0]
	v_pk_add_f32 v[8:9], v[8:9], v[12:13] op_sel:[0,1] op_sel_hi:[1,0] neg_lo:[0,1] neg_hi:[0,1]
	v_pk_add_f32 v[4:5], v[4:5], v[22:23]
	global_store_dwordx2 v[16:17], v[4:5], off
	v_mov_b32_e32 v4, v8
	v_mov_b32_e32 v5, v27
	global_store_dwordx2 v[18:19], v[4:5], off
	v_mul_hi_u32 v4, v71, s8
	v_sub_u32_e32 v5, v71, v4
	v_lshrrev_b32_e32 v5, 1, v5
	v_add_u32_e32 v4, v5, v4
	v_lshrrev_b32_e32 v4, 7, v4
	v_mad_u32_u24 v16, v4, s3, v71
	v_mad_u64_u32 v[4:5], s[6:7], s16, v16, 0
	v_mov_b32_e32 v8, v5
	v_mov_b32_e32 v27, v9
	v_mad_u64_u32 v[8:9], s[6:7], s17, v16, v[8:9]
	v_add_u32_e32 v13, 0xdd, v16
	v_mov_b32_e32 v5, v8
	v_mad_u64_u32 v[8:9], s[6:7], s16, v13, 0
	v_mov_b32_e32 v12, v9
	v_mad_u64_u32 v[12:13], s[6:7], s17, v13, v[12:13]
	v_add_u32_e32 v17, 0x1ba, v16
	v_mov_b32_e32 v9, v12
	v_mad_u64_u32 v[12:13], s[6:7], s16, v17, 0
	v_mov_b32_e32 v16, v13
	v_mad_u64_u32 v[16:17], s[6:7], s17, v17, v[16:17]
	v_mov_b32_e32 v13, v16
	v_pk_mul_f32 v[16:17], v[44:45], v[14:15] op_sel:[0,1]
	global_store_dwordx2 v[20:21], v[26:27], off
	v_pk_fma_f32 v[18:19], v[44:45], v[14:15], v[16:17] op_sel:[0,0,1] op_sel_hi:[1,1,0]
	v_pk_fma_f32 v[14:15], v[44:45], v[14:15], v[16:17] op_sel:[0,0,1] op_sel_hi:[1,0,0] neg_lo:[1,0,0] neg_hi:[1,0,0]
	v_lshl_add_u64 v[4:5], v[4:5], 3, v[28:29]
	v_mov_b32_e32 v14, v47
	v_mov_b32_e32 v19, v15
	v_pk_mul_f32 v[14:15], v[10:11], v[14:15] op_sel_hi:[1,0]
	v_lshl_add_u64 v[8:9], v[8:9], 3, v[28:29]
	v_pk_fma_f32 v[16:17], v[10:11], v[46:47], v[14:15] op_sel:[0,0,1] op_sel_hi:[1,1,0]
	v_pk_fma_f32 v[10:11], v[10:11], v[46:47], v[14:15] op_sel:[0,0,1] op_sel_hi:[1,0,0] neg_lo:[0,0,1] neg_hi:[0,0,1]
	v_lshl_add_u64 v[12:13], v[12:13], 3, v[28:29]
	v_mov_b32_e32 v17, v11
	v_pk_add_f32 v[10:11], v[18:19], v[16:17]
	v_pk_add_f32 v[14:15], v[18:19], v[16:17] neg_lo:[0,1] neg_hi:[0,1]
	v_pk_fma_f32 v[10:11], v[10:11], 0.5, v[6:7] op_sel_hi:[1,0,1] neg_lo:[1,0,0] neg_hi:[1,0,0]
	v_pk_mul_f32 v[14:15], v[14:15], s[2:3] op_sel_hi:[1,0]
	v_pk_add_f32 v[6:7], v[6:7], v[18:19]
	v_pk_add_f32 v[20:21], v[10:11], v[14:15] op_sel:[0,1] op_sel_hi:[1,0]
	v_pk_add_f32 v[10:11], v[10:11], v[14:15] op_sel:[0,1] op_sel_hi:[1,0] neg_lo:[0,1] neg_hi:[0,1]
	v_pk_add_f32 v[6:7], v[6:7], v[16:17]
	global_store_dwordx2 v[4:5], v[6:7], off
	v_mov_b32_e32 v4, v10
	v_mov_b32_e32 v5, v21
	;; [unrolled: 1-line block ×3, first 2 shown]
	global_store_dwordx2 v[8:9], v[4:5], off
	global_store_dwordx2 v[12:13], v[20:21], off
	s_and_b64 exec, exec, s[0:1]
	s_cbranch_execz .LBB0_18
; %bb.17:
	v_add_u32_e32 v15, 0xcc, v170
	v_subrev_u32_e32 v4, 17, v170
	v_cndmask_b32_e64 v4, v4, v15, s[0:1]
	v_lshlrev_b32_e32 v34, 1, v4
	v_lshl_add_u64 v[4:5], v[34:35], 3, s[4:5]
	global_load_dwordx4 v[4:7], v[4:5], off offset:1632
	v_add_u32_e32 v17, 0x1a9, v170
	v_add_u32_e32 v19, 0x286, v170
	v_mad_u64_u32 v[8:9], s[0:1], s16, v15, 0
	v_mad_u64_u32 v[10:11], s[0:1], s16, v17, 0
	;; [unrolled: 1-line block ×3, first 2 shown]
	v_mov_b32_e32 v14, v9
	v_mov_b32_e32 v16, v11
	;; [unrolled: 1-line block ×3, first 2 shown]
	v_mad_u64_u32 v[14:15], s[0:1], s17, v15, v[14:15]
	v_mad_u64_u32 v[16:17], s[0:1], s17, v17, v[16:17]
	v_mad_u64_u32 v[18:19], s[0:1], s17, v19, v[18:19]
	v_mov_b32_e32 v9, v14
	v_mov_b32_e32 v11, v16
	;; [unrolled: 1-line block ×3, first 2 shown]
	v_lshl_add_u64 v[8:9], v[8:9], 3, v[28:29]
	v_lshl_add_u64 v[10:11], v[10:11], 3, v[28:29]
	;; [unrolled: 1-line block ×3, first 2 shown]
	s_waitcnt vmcnt(0)
	v_pk_mul_f32 v[14:15], v[2:3], v[4:5] op_sel:[1,0]
	v_pk_mul_f32 v[16:17], v[32:33], v[6:7] op_sel:[1,0]
	v_pk_fma_f32 v[18:19], v[2:3], v[4:5], v[14:15] op_sel:[0,0,1] op_sel_hi:[1,1,0]
	v_pk_fma_f32 v[2:3], v[2:3], v[4:5], v[14:15] op_sel:[0,0,1] op_sel_hi:[0,1,0] neg_lo:[1,0,0] neg_hi:[1,0,0]
	v_pk_fma_f32 v[4:5], v[32:33], v[6:7], v[16:17] op_sel:[0,0,1] op_sel_hi:[1,1,0]
	v_pk_fma_f32 v[6:7], v[32:33], v[6:7], v[16:17] op_sel:[0,0,1] op_sel_hi:[0,1,0] neg_lo:[1,0,0] neg_hi:[1,0,0]
	v_mov_b32_e32 v19, v3
	v_mov_b32_e32 v5, v7
	v_pk_add_f32 v[2:3], v[18:19], v[4:5]
	v_pk_add_f32 v[6:7], v[18:19], v[4:5] neg_lo:[0,1] neg_hi:[0,1]
	v_pk_add_f32 v[14:15], v[0:1], v[18:19]
	v_pk_fma_f32 v[0:1], -0.5, v[2:3], v[0:1] op_sel_hi:[0,1,1]
	v_pk_mul_f32 v[2:3], v[6:7], s[2:3] op_sel_hi:[1,0]
	v_pk_add_f32 v[4:5], v[14:15], v[4:5]
	v_pk_add_f32 v[6:7], v[0:1], v[2:3] op_sel:[0,1] op_sel_hi:[1,0] neg_lo:[0,1] neg_hi:[0,1]
	v_pk_add_f32 v[0:1], v[0:1], v[2:3] op_sel:[0,1] op_sel_hi:[1,0]
	v_mov_b32_e32 v2, v6
	v_mov_b32_e32 v3, v1
	global_store_dwordx2 v[8:9], v[4:5], off
	v_mov_b32_e32 v1, v7
	global_store_dwordx2 v[10:11], v[2:3], off
	global_store_dwordx2 v[12:13], v[0:1], off
.LBB0_18:
	s_endpgm
	.section	.rodata,"a",@progbits
	.p2align	6, 0x0
	.amdhsa_kernel fft_rtc_back_len663_factors_17_13_3_wgs_51_tpt_51_sp_op_CI_CI_sbrr_dirReg
		.amdhsa_group_segment_fixed_size 0
		.amdhsa_private_segment_fixed_size 0
		.amdhsa_kernarg_size 104
		.amdhsa_user_sgpr_count 2
		.amdhsa_user_sgpr_dispatch_ptr 0
		.amdhsa_user_sgpr_queue_ptr 0
		.amdhsa_user_sgpr_kernarg_segment_ptr 1
		.amdhsa_user_sgpr_dispatch_id 0
		.amdhsa_user_sgpr_kernarg_preload_length 0
		.amdhsa_user_sgpr_kernarg_preload_offset 0
		.amdhsa_user_sgpr_private_segment_size 0
		.amdhsa_uses_dynamic_stack 0
		.amdhsa_enable_private_segment 0
		.amdhsa_system_sgpr_workgroup_id_x 1
		.amdhsa_system_sgpr_workgroup_id_y 0
		.amdhsa_system_sgpr_workgroup_id_z 0
		.amdhsa_system_sgpr_workgroup_info 0
		.amdhsa_system_vgpr_workitem_id 0
		.amdhsa_next_free_vgpr 210
		.amdhsa_next_free_sgpr 56
		.amdhsa_accum_offset 212
		.amdhsa_reserve_vcc 1
		.amdhsa_float_round_mode_32 0
		.amdhsa_float_round_mode_16_64 0
		.amdhsa_float_denorm_mode_32 3
		.amdhsa_float_denorm_mode_16_64 3
		.amdhsa_dx10_clamp 1
		.amdhsa_ieee_mode 1
		.amdhsa_fp16_overflow 0
		.amdhsa_tg_split 0
		.amdhsa_exception_fp_ieee_invalid_op 0
		.amdhsa_exception_fp_denorm_src 0
		.amdhsa_exception_fp_ieee_div_zero 0
		.amdhsa_exception_fp_ieee_overflow 0
		.amdhsa_exception_fp_ieee_underflow 0
		.amdhsa_exception_fp_ieee_inexact 0
		.amdhsa_exception_int_div_zero 0
	.end_amdhsa_kernel
	.text
.Lfunc_end0:
	.size	fft_rtc_back_len663_factors_17_13_3_wgs_51_tpt_51_sp_op_CI_CI_sbrr_dirReg, .Lfunc_end0-fft_rtc_back_len663_factors_17_13_3_wgs_51_tpt_51_sp_op_CI_CI_sbrr_dirReg
                                        ; -- End function
	.section	.AMDGPU.csdata,"",@progbits
; Kernel info:
; codeLenInByte = 11076
; NumSgprs: 62
; NumVgprs: 210
; NumAgprs: 0
; TotalNumVgprs: 210
; ScratchSize: 0
; MemoryBound: 0
; FloatMode: 240
; IeeeMode: 1
; LDSByteSize: 0 bytes/workgroup (compile time only)
; SGPRBlocks: 7
; VGPRBlocks: 26
; NumSGPRsForWavesPerEU: 62
; NumVGPRsForWavesPerEU: 210
; AccumOffset: 212
; Occupancy: 2
; WaveLimiterHint : 1
; COMPUTE_PGM_RSRC2:SCRATCH_EN: 0
; COMPUTE_PGM_RSRC2:USER_SGPR: 2
; COMPUTE_PGM_RSRC2:TRAP_HANDLER: 0
; COMPUTE_PGM_RSRC2:TGID_X_EN: 1
; COMPUTE_PGM_RSRC2:TGID_Y_EN: 0
; COMPUTE_PGM_RSRC2:TGID_Z_EN: 0
; COMPUTE_PGM_RSRC2:TIDIG_COMP_CNT: 0
; COMPUTE_PGM_RSRC3_GFX90A:ACCUM_OFFSET: 52
; COMPUTE_PGM_RSRC3_GFX90A:TG_SPLIT: 0
	.text
	.p2alignl 6, 3212836864
	.fill 256, 4, 3212836864
	.type	__hip_cuid_cf404e7dc49e9f3f,@object ; @__hip_cuid_cf404e7dc49e9f3f
	.section	.bss,"aw",@nobits
	.globl	__hip_cuid_cf404e7dc49e9f3f
__hip_cuid_cf404e7dc49e9f3f:
	.byte	0                               ; 0x0
	.size	__hip_cuid_cf404e7dc49e9f3f, 1

	.ident	"AMD clang version 19.0.0git (https://github.com/RadeonOpenCompute/llvm-project roc-6.4.0 25133 c7fe45cf4b819c5991fe208aaa96edf142730f1d)"
	.section	".note.GNU-stack","",@progbits
	.addrsig
	.addrsig_sym __hip_cuid_cf404e7dc49e9f3f
	.amdgpu_metadata
---
amdhsa.kernels:
  - .agpr_count:     0
    .args:
      - .actual_access:  read_only
        .address_space:  global
        .offset:         0
        .size:           8
        .value_kind:     global_buffer
      - .offset:         8
        .size:           8
        .value_kind:     by_value
      - .actual_access:  read_only
        .address_space:  global
        .offset:         16
        .size:           8
        .value_kind:     global_buffer
      - .actual_access:  read_only
        .address_space:  global
        .offset:         24
        .size:           8
        .value_kind:     global_buffer
      - .actual_access:  read_only
        .address_space:  global
        .offset:         32
        .size:           8
        .value_kind:     global_buffer
      - .offset:         40
        .size:           8
        .value_kind:     by_value
      - .actual_access:  read_only
        .address_space:  global
        .offset:         48
        .size:           8
        .value_kind:     global_buffer
      - .actual_access:  read_only
        .address_space:  global
        .offset:         56
        .size:           8
        .value_kind:     global_buffer
      - .offset:         64
        .size:           4
        .value_kind:     by_value
      - .actual_access:  read_only
        .address_space:  global
        .offset:         72
        .size:           8
        .value_kind:     global_buffer
      - .actual_access:  read_only
        .address_space:  global
        .offset:         80
        .size:           8
        .value_kind:     global_buffer
      - .actual_access:  read_only
        .address_space:  global
        .offset:         88
        .size:           8
        .value_kind:     global_buffer
      - .actual_access:  write_only
        .address_space:  global
        .offset:         96
        .size:           8
        .value_kind:     global_buffer
    .group_segment_fixed_size: 0
    .kernarg_segment_align: 8
    .kernarg_segment_size: 104
    .language:       OpenCL C
    .language_version:
      - 2
      - 0
    .max_flat_workgroup_size: 51
    .name:           fft_rtc_back_len663_factors_17_13_3_wgs_51_tpt_51_sp_op_CI_CI_sbrr_dirReg
    .private_segment_fixed_size: 0
    .sgpr_count:     62
    .sgpr_spill_count: 0
    .symbol:         fft_rtc_back_len663_factors_17_13_3_wgs_51_tpt_51_sp_op_CI_CI_sbrr_dirReg.kd
    .uniform_work_group_size: 1
    .uses_dynamic_stack: false
    .vgpr_count:     210
    .vgpr_spill_count: 0
    .wavefront_size: 64
amdhsa.target:   amdgcn-amd-amdhsa--gfx950
amdhsa.version:
  - 1
  - 2
...

	.end_amdgpu_metadata
